;; amdgpu-corpus repo=ROCm/rocFFT kind=compiled arch=gfx906 opt=O3
	.text
	.amdgcn_target "amdgcn-amd-amdhsa--gfx906"
	.amdhsa_code_object_version 6
	.protected	bluestein_single_back_len1500_dim1_half_op_CI_CI ; -- Begin function bluestein_single_back_len1500_dim1_half_op_CI_CI
	.globl	bluestein_single_back_len1500_dim1_half_op_CI_CI
	.p2align	8
	.type	bluestein_single_back_len1500_dim1_half_op_CI_CI,@function
bluestein_single_back_len1500_dim1_half_op_CI_CI: ; @bluestein_single_back_len1500_dim1_half_op_CI_CI
; %bb.0:
	s_load_dwordx4 s[16:19], s[4:5], 0x28
	v_mul_u32_u24_e32 v1, 0x1b5, v0
	v_add_u32_sdwa v16, s6, v1 dst_sel:DWORD dst_unused:UNUSED_PAD src0_sel:DWORD src1_sel:WORD_1
	v_mov_b32_e32 v17, 0
	s_waitcnt lgkmcnt(0)
	v_cmp_gt_u64_e32 vcc, s[16:17], v[16:17]
	s_and_saveexec_b64 s[0:1], vcc
	s_cbranch_execz .LBB0_10
; %bb.1:
	s_load_dwordx4 s[0:3], s[4:5], 0x18
	s_load_dwordx4 s[12:15], s[4:5], 0x0
	s_mov_b32 s16, 0xbb9c
	s_movk_i32 s17, 0x3a79
	s_waitcnt lgkmcnt(0)
	s_load_dwordx4 s[8:11], s[0:1], 0x0
	s_movk_i32 s0, 0x96
	v_mul_lo_u16_sdwa v1, v1, s0 dst_sel:DWORD dst_unused:UNUSED_PAD src0_sel:WORD_1 src1_sel:DWORD
	v_sub_u16_e32 v42, v0, v1
	v_lshlrev_b32_e32 v37, 2, v42
	s_waitcnt lgkmcnt(0)
	v_mad_u64_u32 v[0:1], s[6:7], s10, v16, 0
	v_mad_u64_u32 v[2:3], s[6:7], s8, v42, 0
	s_mul_i32 s1, s9, 0x4b0
	global_load_dword v44, v37, s[12:13]
	global_load_dword v43, v37, s[12:13] offset:1200
	v_mad_u64_u32 v[4:5], s[6:7], s11, v16, v[1:2]
	v_add_u32_e32 v18, 0x400, v37
	v_add_u32_e32 v20, 0x800, v37
	v_mad_u64_u32 v[5:6], s[6:7], s9, v42, v[3:4]
	v_mov_b32_e32 v1, v4
	v_lshlrev_b64 v[0:1], 2, v[0:1]
	v_mov_b32_e32 v6, s19
	v_mov_b32_e32 v3, v5
	v_add_co_u32_e32 v4, vcc, s18, v0
	v_addc_co_u32_e32 v5, vcc, v6, v1, vcc
	v_lshlrev_b64 v[0:1], 2, v[2:3]
	v_mov_b32_e32 v2, s13
	v_add_co_u32_e32 v0, vcc, v4, v0
	v_addc_co_u32_e32 v1, vcc, v5, v1, vcc
	global_load_dword v4, v[0:1], off
	v_add_co_u32_e32 v5, vcc, s12, v37
	s_mul_hi_u32 s6, s8, 0x4b0
	v_addc_co_u32_e32 v6, vcc, 0, v2, vcc
	s_add_i32 s1, s6, s1
	s_mul_i32 s6, s8, 0x4b0
	v_mov_b32_e32 v2, s1
	v_add_co_u32_e32 v0, vcc, s6, v0
	v_addc_co_u32_e32 v1, vcc, v1, v2, vcc
	v_mov_b32_e32 v3, s1
	v_add_co_u32_e32 v2, vcc, s6, v0
	v_addc_co_u32_e32 v3, vcc, v1, v3, vcc
	global_load_dword v7, v[0:1], off
	global_load_dword v8, v[2:3], off
	global_load_dword v41, v37, s[12:13] offset:2400
	v_mov_b32_e32 v1, s1
	v_add_co_u32_e32 v0, vcc, s6, v2
	v_addc_co_u32_e32 v1, vcc, v3, v1, vcc
	v_mov_b32_e32 v3, s1
	v_add_co_u32_e32 v2, vcc, s6, v0
	global_load_dword v40, v37, s[12:13] offset:3600
	v_addc_co_u32_e32 v3, vcc, v1, v3, vcc
	global_load_dword v9, v[0:1], off
	global_load_dword v10, v[2:3], off
	s_movk_i32 s7, 0x1000
	v_add_co_u32_e32 v0, vcc, s7, v5
	v_mov_b32_e32 v5, 0xffffef98
	v_addc_co_u32_e32 v1, vcc, 0, v6, vcc
	v_mad_u64_u32 v[2:3], s[10:11], s8, v5, v[2:3]
	global_load_dword v39, v[0:1], off offset:704
	s_mul_i32 s7, s9, 0xffffef98
	s_sub_i32 s7, s7, s8
	v_add_u32_e32 v3, s7, v3
	global_load_dword v5, v[2:3], off
	global_load_dword v35, v37, s[12:13] offset:3000
	global_load_dword v36, v37, s[12:13] offset:1800
	global_load_dword v38, v37, s[12:13] offset:600
	v_mov_b32_e32 v6, s1
	v_add_co_u32_e32 v2, vcc, s6, v2
	v_addc_co_u32_e32 v3, vcc, v3, v6, vcc
	global_load_dword v6, v[2:3], off
	v_mov_b32_e32 v11, s1
	v_add_co_u32_e32 v2, vcc, s6, v2
	v_addc_co_u32_e32 v3, vcc, v3, v11, vcc
	global_load_dword v11, v[2:3], off
	;; [unrolled: 4-line block ×3, first 2 shown]
	global_load_dword v33, v[0:1], off offset:1304
	global_load_dword v34, v[0:1], off offset:104
	v_mov_b32_e32 v1, s1
	v_add_co_u32_e32 v0, vcc, s6, v2
	v_addc_co_u32_e32 v1, vcc, v3, v1, vcc
	global_load_dword v0, v[0:1], off
	v_add_u32_e32 v19, 0xe00, v37
	v_add_u32_e32 v21, 0x1200, v37
	s_load_dwordx4 s[8:11], s[2:3], 0x0
	s_movk_i32 s1, 0x3b9c
	s_movk_i32 s6, 0x38b4
	s_mov_b32 s2, 0xffff
	v_add_co_u32_e32 v17, vcc, s0, v42
	s_movk_i32 s0, 0x34f2
	s_mov_b32 s7, 0xb8b4
	s_waitcnt vmcnt(17)
	v_lshrrev_b32_e32 v1, 16, v4
	v_mul_f16_sdwa v2, v44, v1 dst_sel:DWORD dst_unused:UNUSED_PAD src0_sel:WORD_1 src1_sel:DWORD
	v_mul_f16_sdwa v3, v44, v4 dst_sel:DWORD dst_unused:UNUSED_PAD src0_sel:WORD_1 src1_sel:DWORD
	v_fma_f16 v2, v44, v4, v2
	v_fma_f16 v1, v44, v1, -v3
	v_pack_b32_f16 v1, v2, v1
	s_waitcnt vmcnt(16)
	v_lshrrev_b32_e32 v2, 16, v7
	v_mul_f16_sdwa v3, v43, v2 dst_sel:DWORD dst_unused:UNUSED_PAD src0_sel:WORD_1 src1_sel:DWORD
	v_mul_f16_sdwa v4, v43, v7 dst_sel:DWORD dst_unused:UNUSED_PAD src0_sel:WORD_1 src1_sel:DWORD
	v_fma_f16 v3, v43, v7, v3
	v_fma_f16 v2, v43, v2, -v4
	v_pack_b32_f16 v2, v3, v2
	ds_write_b32 v37, v2 offset:1200
	s_waitcnt vmcnt(15)
	v_lshrrev_b32_e32 v2, 16, v8
	s_waitcnt vmcnt(14)
	v_mul_f16_sdwa v3, v41, v2 dst_sel:DWORD dst_unused:UNUSED_PAD src0_sel:WORD_1 src1_sel:DWORD
	v_mul_f16_sdwa v4, v41, v8 dst_sel:DWORD dst_unused:UNUSED_PAD src0_sel:WORD_1 src1_sel:DWORD
	v_fma_f16 v3, v41, v8, v3
	v_fma_f16 v2, v41, v2, -v4
	v_pack_b32_f16 v2, v3, v2
	ds_write_b32 v37, v2 offset:2400
	s_waitcnt vmcnt(12)
	v_lshrrev_b32_e32 v2, 16, v9
	v_mul_f16_sdwa v3, v40, v2 dst_sel:DWORD dst_unused:UNUSED_PAD src0_sel:WORD_1 src1_sel:DWORD
	v_mul_f16_sdwa v4, v40, v9 dst_sel:DWORD dst_unused:UNUSED_PAD src0_sel:WORD_1 src1_sel:DWORD
	v_fma_f16 v3, v40, v9, v3
	v_fma_f16 v2, v40, v2, -v4
	v_pack_b32_f16 v2, v3, v2
	ds_write_b32 v37, v2 offset:3600
	s_waitcnt vmcnt(11)
	v_lshrrev_b32_e32 v2, 16, v10
	s_waitcnt vmcnt(10)
	v_mul_f16_sdwa v3, v39, v2 dst_sel:DWORD dst_unused:UNUSED_PAD src0_sel:WORD_1 src1_sel:DWORD
	v_mul_f16_sdwa v4, v39, v10 dst_sel:DWORD dst_unused:UNUSED_PAD src0_sel:WORD_1 src1_sel:DWORD
	v_fma_f16 v3, v39, v10, v3
	v_fma_f16 v2, v39, v2, -v4
	v_pack_b32_f16 v2, v3, v2
	ds_write_b32 v37, v2 offset:4800
	s_waitcnt vmcnt(9)
	v_lshrrev_b32_e32 v2, 16, v5
	s_waitcnt vmcnt(6)
	v_mul_f16_sdwa v3, v38, v2 dst_sel:DWORD dst_unused:UNUSED_PAD src0_sel:WORD_1 src1_sel:DWORD
	v_mul_f16_sdwa v4, v38, v5 dst_sel:DWORD dst_unused:UNUSED_PAD src0_sel:WORD_1 src1_sel:DWORD
	v_fma_f16 v3, v38, v5, v3
	v_fma_f16 v2, v38, v2, -v4
	v_pack_b32_f16 v2, v3, v2
	ds_write2_b32 v37, v1, v2 offset1:150
	s_waitcnt vmcnt(5)
	v_lshrrev_b32_e32 v1, 16, v6
	v_mul_f16_sdwa v2, v36, v1 dst_sel:DWORD dst_unused:UNUSED_PAD src0_sel:WORD_1 src1_sel:DWORD
	v_mul_f16_sdwa v3, v36, v6 dst_sel:DWORD dst_unused:UNUSED_PAD src0_sel:WORD_1 src1_sel:DWORD
	v_fma_f16 v2, v36, v6, v2
	v_fma_f16 v1, v36, v1, -v3
	v_pack_b32_f16 v1, v2, v1
	ds_write_b32 v37, v1 offset:1800
	s_waitcnt vmcnt(4)
	v_lshrrev_b32_e32 v1, 16, v11
	v_mul_f16_sdwa v2, v35, v1 dst_sel:DWORD dst_unused:UNUSED_PAD src0_sel:WORD_1 src1_sel:DWORD
	v_mul_f16_sdwa v3, v35, v11 dst_sel:DWORD dst_unused:UNUSED_PAD src0_sel:WORD_1 src1_sel:DWORD
	v_fma_f16 v2, v35, v11, v2
	v_fma_f16 v1, v35, v1, -v3
	v_pack_b32_f16 v1, v2, v1
	ds_write_b32 v37, v1 offset:3000
	s_waitcnt vmcnt(3)
	v_lshrrev_b32_e32 v1, 16, v12
	s_waitcnt vmcnt(1)
	v_mul_f16_sdwa v2, v34, v1 dst_sel:DWORD dst_unused:UNUSED_PAD src0_sel:WORD_1 src1_sel:DWORD
	v_mul_f16_sdwa v3, v34, v12 dst_sel:DWORD dst_unused:UNUSED_PAD src0_sel:WORD_1 src1_sel:DWORD
	v_fma_f16 v2, v34, v12, v2
	v_fma_f16 v1, v34, v1, -v3
	v_pack_b32_f16 v1, v2, v1
	ds_write_b32 v37, v1 offset:4200
	s_waitcnt vmcnt(0)
	v_lshrrev_b32_e32 v1, 16, v0
	v_mul_f16_sdwa v2, v33, v1 dst_sel:DWORD dst_unused:UNUSED_PAD src0_sel:WORD_1 src1_sel:DWORD
	v_fma_f16 v2, v33, v0, v2
	v_mul_f16_sdwa v0, v33, v0 dst_sel:DWORD dst_unused:UNUSED_PAD src0_sel:WORD_1 src1_sel:DWORD
	v_fma_f16 v0, v33, v1, -v0
	v_pack_b32_f16 v0, v2, v0
	ds_write_b32 v37, v0 offset:5400
	s_waitcnt lgkmcnt(0)
	s_barrier
	v_mul_lo_u16_e32 v0, 5, v42
	ds_read2_b32 v[2:3], v18 offset0:44 offset1:194
	ds_read2_b32 v[4:5], v20 offset0:88 offset1:238
	;; [unrolled: 1-line block ×4, first 2 shown]
	v_lshlrev_b32_e32 v46, 2, v0
	ds_read2_b32 v[0:1], v37 offset1:150
	s_waitcnt lgkmcnt(3)
	v_pk_add_f16 v23, v2, v4 neg_lo:[0,1] neg_hi:[0,1]
	s_waitcnt lgkmcnt(2)
	v_pk_add_f16 v12, v4, v6
	s_waitcnt lgkmcnt(1)
	v_pk_add_f16 v13, v2, v8 neg_lo:[0,1] neg_hi:[0,1]
	v_pk_mul_f16 v14, v13, s1 op_sel_hi:[1,0]
	s_waitcnt lgkmcnt(0)
	v_pk_fma_f16 v12, v12, 0.5, v0 op_sel_hi:[1,0,1] neg_lo:[1,0,0] neg_hi:[1,0,0]
	v_pk_add_f16 v15, v4, v6 neg_lo:[0,1] neg_hi:[0,1]
	v_pk_add_f16 v24, v8, v6 neg_lo:[0,1] neg_hi:[0,1]
	v_pk_add_f16 v11, v0, v2
	v_pk_mul_f16 v22, v15, s6 op_sel_hi:[1,0]
	v_pk_add_f16 v23, v23, v24
	v_pk_add_f16 v24, v12, v14 op_sel:[0,1] op_sel_hi:[1,0]
	v_pk_add_f16 v12, v12, v14 op_sel:[0,1] op_sel_hi:[1,0] neg_lo:[0,1] neg_hi:[0,1]
	v_pk_add_f16 v11, v11, v4
	v_pk_add_f16 v14, v24, v22 op_sel:[0,1] op_sel_hi:[1,0]
	v_pk_add_f16 v12, v12, v22 op_sel:[0,1] op_sel_hi:[1,0] neg_lo:[0,1] neg_hi:[0,1]
	v_pk_add_f16 v11, v11, v6
	v_bfi_b32 v22, s2, v14, v12
	v_pk_add_f16 v11, v11, v8
	v_pk_fma_f16 v22, v23, s0, v22 op_sel_hi:[1,0,1]
	s_barrier
	ds_write2_b32 v46, v11, v22 offset1:1
	v_pk_add_f16 v11, v2, v8
	v_pk_add_f16 v2, v4, v2 neg_lo:[0,1] neg_hi:[0,1]
	v_pk_add_f16 v4, v6, v8 neg_lo:[0,1] neg_hi:[0,1]
	v_pk_fma_f16 v0, v11, 0.5, v0 op_sel_hi:[1,0,1] neg_lo:[1,0,0] neg_hi:[1,0,0]
	v_pk_add_f16 v2, v2, v4
	v_pk_mul_f16 v4, v15, s1 op_sel_hi:[1,0]
	v_pk_mul_f16 v6, v13, s6 op_sel_hi:[1,0]
	v_pk_add_f16 v8, v0, v4 op_sel:[0,1] op_sel_hi:[1,0] neg_lo:[0,1] neg_hi:[0,1]
	v_pk_add_f16 v0, v0, v4 op_sel:[0,1] op_sel_hi:[1,0]
	v_pk_add_f16 v4, v8, v6 op_sel:[0,1] op_sel_hi:[1,0]
	v_pk_add_f16 v0, v0, v6 op_sel:[0,1] op_sel_hi:[1,0] neg_lo:[0,1] neg_hi:[0,1]
	v_bfi_b32 v6, s2, v4, v0
	v_bfi_b32 v0, s2, v0, v4
	v_pk_fma_f16 v6, v2, s0, v6 op_sel_hi:[1,0,1]
	v_pk_fma_f16 v0, v2, s0, v0 op_sel_hi:[1,0,1]
	ds_write2_b32 v46, v6, v0 offset0:2 offset1:3
	v_bfi_b32 v0, s2, v12, v14
	v_pk_fma_f16 v0, v23, s0, v0 op_sel_hi:[1,0,1]
	ds_write_b32 v46, v0 offset:16
	v_pk_add_f16 v0, v5, v7
	v_pk_add_f16 v2, v3, v9 neg_lo:[0,1] neg_hi:[0,1]
	v_mul_u32_u24_e32 v10, 5, v17
	v_pk_fma_f16 v0, v0, 0.5, v1 op_sel_hi:[1,0,1] neg_lo:[1,0,0] neg_hi:[1,0,0]
	v_pk_mul_f16 v4, v2, s1 op_sel_hi:[1,0]
	v_pk_add_f16 v6, v5, v7 neg_lo:[0,1] neg_hi:[0,1]
	v_pk_add_f16 v11, v3, v5 neg_lo:[0,1] neg_hi:[0,1]
	;; [unrolled: 1-line block ×3, first 2 shown]
	v_lshlrev_b32_e32 v45, 2, v10
	v_pk_add_f16 v10, v1, v3
	v_pk_mul_f16 v8, v6, s6 op_sel_hi:[1,0]
	v_pk_add_f16 v11, v11, v12
	v_pk_add_f16 v12, v0, v4 op_sel:[0,1] op_sel_hi:[1,0]
	v_pk_add_f16 v0, v0, v4 op_sel:[0,1] op_sel_hi:[1,0] neg_lo:[0,1] neg_hi:[0,1]
	v_pk_add_f16 v10, v10, v5
	v_pk_add_f16 v4, v12, v8 op_sel:[0,1] op_sel_hi:[1,0]
	v_pk_add_f16 v0, v0, v8 op_sel:[0,1] op_sel_hi:[1,0] neg_lo:[0,1] neg_hi:[0,1]
	v_pk_add_f16 v10, v10, v7
	v_bfi_b32 v8, s2, v4, v0
	v_pk_add_f16 v10, v10, v9
	v_pk_fma_f16 v8, v11, s0, v8 op_sel_hi:[1,0,1]
	ds_write2_b32 v45, v10, v8 offset1:1
	v_pk_add_f16 v8, v3, v9
	v_pk_add_f16 v3, v5, v3 neg_lo:[0,1] neg_hi:[0,1]
	v_pk_add_f16 v5, v7, v9 neg_lo:[0,1] neg_hi:[0,1]
	v_pk_fma_f16 v1, v8, 0.5, v1 op_sel_hi:[1,0,1] neg_lo:[1,0,0] neg_hi:[1,0,0]
	v_pk_add_f16 v3, v3, v5
	v_pk_mul_f16 v5, v6, s1 op_sel_hi:[1,0]
	v_pk_mul_f16 v2, v2, s6 op_sel_hi:[1,0]
	v_pk_add_f16 v6, v1, v5 op_sel:[0,1] op_sel_hi:[1,0] neg_lo:[0,1] neg_hi:[0,1]
	v_pk_add_f16 v1, v1, v5 op_sel:[0,1] op_sel_hi:[1,0]
	v_pk_add_f16 v5, v6, v2 op_sel:[0,1] op_sel_hi:[1,0]
	v_pk_add_f16 v1, v1, v2 op_sel:[0,1] op_sel_hi:[1,0] neg_lo:[0,1] neg_hi:[0,1]
	v_bfi_b32 v0, s2, v0, v4
	v_bfi_b32 v2, s2, v5, v1
	;; [unrolled: 1-line block ×3, first 2 shown]
	v_pk_fma_f16 v0, v11, s0, v0 op_sel_hi:[1,0,1]
	s_movk_i32 s2, 0xcd
	ds_write_b32 v45, v0 offset:16
	v_mul_lo_u16_sdwa v0, v42, s2 dst_sel:DWORD dst_unused:UNUSED_PAD src0_sel:BYTE_0 src1_sel:DWORD
	v_lshrrev_b16_e32 v8, 10, v0
	v_mul_lo_u16_e32 v0, 5, v8
	v_sub_u16_e32 v0, v42, v0
	v_and_b32_e32 v9, 0xff, v0
	v_mad_u64_u32 v[10:11], s[2:3], v9, 36, s[14:15]
	v_pk_fma_f16 v2, v3, s0, v2 op_sel_hi:[1,0,1]
	v_pk_fma_f16 v1, v3, s0, v1 op_sel_hi:[1,0,1]
	ds_write2_b32 v45, v2, v1 offset0:2 offset1:3
	s_waitcnt lgkmcnt(0)
	s_barrier
	global_load_dwordx4 v[0:3], v[10:11], off
	global_load_dwordx4 v[4:7], v[10:11], off offset:16
	global_load_dword v47, v[10:11], off offset:32
	ds_read2_b32 v[10:11], v37 offset1:150
	ds_read2_b32 v[12:13], v18 offset0:44 offset1:194
	ds_read2_b32 v[14:15], v20 offset0:88 offset1:238
	;; [unrolled: 1-line block ×4, first 2 shown]
	s_waitcnt lgkmcnt(4)
	v_lshrrev_b32_e32 v27, 16, v11
	s_waitcnt lgkmcnt(3)
	v_lshrrev_b32_e32 v28, 16, v12
	v_lshrrev_b32_e32 v29, 16, v13
	s_waitcnt lgkmcnt(2)
	v_lshrrev_b32_e32 v30, 16, v14
	;; [unrolled: 3-line block ×4, first 2 shown]
	v_lshrrev_b32_e32 v50, 16, v25
	v_lshrrev_b32_e32 v26, 16, v10
	v_mul_u32_u24_e32 v8, 50, v8
	s_waitcnt vmcnt(0)
	s_barrier
	v_mul_f16_sdwa v51, v27, v0 dst_sel:DWORD dst_unused:UNUSED_PAD src0_sel:DWORD src1_sel:WORD_1
	v_fma_f16 v51, v11, v0, -v51
	v_mul_f16_sdwa v11, v11, v0 dst_sel:DWORD dst_unused:UNUSED_PAD src0_sel:DWORD src1_sel:WORD_1
	v_fma_f16 v11, v27, v0, v11
	v_mul_f16_sdwa v27, v28, v1 dst_sel:DWORD dst_unused:UNUSED_PAD src0_sel:DWORD src1_sel:WORD_1
	v_fma_f16 v27, v12, v1, -v27
	v_mul_f16_sdwa v12, v12, v1 dst_sel:DWORD dst_unused:UNUSED_PAD src0_sel:DWORD src1_sel:WORD_1
	v_fma_f16 v12, v28, v1, v12
	;; [unrolled: 4-line block ×8, first 2 shown]
	v_add_f16_e32 v52, v29, v31
	v_fma_f16 v52, v52, -0.5, v10
	v_sub_f16_e32 v53, v12, v24
	v_fma_f16 v54, v53, s1, v52
	v_sub_f16_e32 v55, v14, v22
	v_sub_f16_e32 v56, v27, v29
	;; [unrolled: 1-line block ×3, first 2 shown]
	v_fma_f16 v52, v53, s16, v52
	v_mul_f16_sdwa v49, v50, v47 dst_sel:DWORD dst_unused:UNUSED_PAD src0_sel:DWORD src1_sel:WORD_1
	v_fma_f16 v54, v55, s6, v54
	v_add_f16_e32 v56, v56, v57
	v_fma_f16 v52, v55, s7, v52
	v_fma_f16 v49, v25, v47, -v49
	v_mul_f16_sdwa v25, v25, v47 dst_sel:DWORD dst_unused:UNUSED_PAD src0_sel:DWORD src1_sel:WORD_1
	v_fma_f16 v54, v56, s0, v54
	v_fma_f16 v52, v56, s0, v52
	v_add_f16_e32 v56, v27, v48
	v_fma_f16 v25, v50, v47, v25
	v_add_f16_e32 v50, v10, v27
	v_fma_f16 v10, v56, -0.5, v10
	v_add_f16_e32 v50, v50, v29
	v_fma_f16 v56, v55, s16, v10
	v_fma_f16 v10, v55, s1, v10
	v_add_f16_e32 v55, v14, v22
	v_add_f16_e32 v50, v50, v31
	v_sub_f16_e32 v57, v29, v27
	v_sub_f16_e32 v58, v31, v48
	v_fma_f16 v55, v55, -0.5, v26
	v_sub_f16_e32 v27, v27, v48
	v_add_f16_e32 v50, v50, v48
	v_fma_f16 v56, v53, s6, v56
	v_add_f16_e32 v57, v57, v58
	v_fma_f16 v10, v53, s7, v10
	v_fma_f16 v48, v27, s16, v55
	v_sub_f16_e32 v29, v29, v31
	v_fma_f16 v56, v57, s0, v56
	v_fma_f16 v10, v57, s0, v10
	;; [unrolled: 1-line block ×3, first 2 shown]
	v_sub_f16_e32 v48, v12, v14
	v_sub_f16_e32 v57, v24, v22
	v_fma_f16 v55, v27, s1, v55
	v_add_f16_e32 v53, v26, v12
	v_add_f16_e32 v48, v48, v57
	v_fma_f16 v55, v29, s6, v55
	v_add_f16_e32 v53, v53, v14
	v_fma_f16 v31, v48, s0, v31
	v_fma_f16 v48, v48, s0, v55
	v_add_f16_e32 v55, v12, v24
	v_add_f16_e32 v53, v53, v22
	v_fma_f16 v26, v55, -0.5, v26
	v_add_f16_e32 v53, v53, v24
	v_fma_f16 v55, v29, s1, v26
	v_sub_f16_e32 v12, v14, v12
	v_sub_f16_e32 v14, v22, v24
	v_add_f16_e32 v24, v30, v32
	v_fma_f16 v55, v27, s7, v55
	v_add_f16_e32 v12, v12, v14
	v_fma_f16 v22, v29, s16, v26
	v_fma_f16 v24, v24, -0.5, v51
	v_sub_f16_e32 v26, v13, v25
	v_fma_f16 v14, v12, s0, v55
	v_fma_f16 v22, v27, s6, v22
	;; [unrolled: 1-line block ×3, first 2 shown]
	v_sub_f16_e32 v29, v15, v23
	v_sub_f16_e32 v55, v28, v30
	;; [unrolled: 1-line block ×3, first 2 shown]
	v_fma_f16 v24, v26, s16, v24
	v_fma_f16 v27, v29, s6, v27
	v_add_f16_e32 v55, v55, v57
	v_fma_f16 v24, v29, s7, v24
	v_fma_f16 v27, v55, s0, v27
	;; [unrolled: 1-line block ×3, first 2 shown]
	v_add_f16_e32 v55, v28, v49
	v_fma_f16 v12, v12, s0, v22
	v_add_f16_e32 v22, v51, v28
	v_fma_f16 v51, v55, -0.5, v51
	v_add_f16_e32 v22, v22, v30
	v_fma_f16 v55, v29, s16, v51
	v_fma_f16 v29, v29, s1, v51
	v_add_f16_e32 v51, v15, v23
	v_add_f16_e32 v22, v22, v32
	v_sub_f16_e32 v57, v30, v28
	v_sub_f16_e32 v58, v32, v49
	v_fma_f16 v51, v51, -0.5, v11
	v_sub_f16_e32 v28, v28, v49
	v_add_f16_e32 v22, v22, v49
	v_fma_f16 v55, v26, s6, v55
	v_add_f16_e32 v57, v57, v58
	v_fma_f16 v26, v26, s7, v29
	v_fma_f16 v49, v28, s16, v51
	v_sub_f16_e32 v30, v30, v32
	v_fma_f16 v55, v57, s0, v55
	v_fma_f16 v26, v57, s0, v26
	;; [unrolled: 1-line block ×3, first 2 shown]
	v_sub_f16_e32 v49, v13, v15
	v_sub_f16_e32 v57, v25, v23
	v_fma_f16 v51, v28, s1, v51
	v_add_f16_e32 v49, v49, v57
	v_fma_f16 v51, v30, s6, v51
	v_fma_f16 v32, v49, s0, v32
	;; [unrolled: 1-line block ×3, first 2 shown]
	v_add_f16_e32 v51, v13, v25
	v_add_f16_e32 v29, v11, v13
	v_fma_f16 v11, v51, -0.5, v11
	v_add_f16_e32 v29, v29, v15
	v_fma_f16 v51, v30, s1, v11
	v_sub_f16_e32 v13, v15, v13
	v_sub_f16_e32 v15, v23, v25
	v_fma_f16 v51, v28, s7, v51
	v_add_f16_e32 v13, v13, v15
	v_fma_f16 v11, v30, s16, v11
	v_add_f16_e32 v29, v29, v23
	v_fma_f16 v15, v13, s0, v51
	v_fma_f16 v11, v28, s6, v11
	v_mul_f16_e32 v23, 0x38b4, v32
	v_fma_f16 v11, v13, s0, v11
	v_fma_f16 v23, v27, s17, v23
	v_mul_f16_e32 v28, 0x3b9c, v15
	v_mul_f16_e32 v51, 0x34f2, v26
	;; [unrolled: 1-line block ×4, first 2 shown]
	v_add_f16_e32 v29, v29, v25
	v_fma_f16 v28, v55, s0, v28
	v_fma_f16 v51, v11, s1, -v51
	v_fma_f16 v58, v49, s6, -v58
	v_fma_f16 v27, v32, s17, v27
	v_mul_f16_e32 v55, 0xbb9c, v55
	v_mul_f16_e32 v11, 0x34f2, v11
	;; [unrolled: 1-line block ×3, first 2 shown]
	v_add_f16_e32 v13, v50, v22
	v_add_f16_e32 v25, v54, v23
	;; [unrolled: 1-line block ×4, first 2 shown]
	v_fma_f16 v15, v15, s0, v55
	v_fma_f16 v11, v26, s16, -v11
	v_fma_f16 v24, v24, s7, -v49
	v_add_f16_e32 v30, v56, v28
	v_add_f16_e32 v57, v10, v51
	;; [unrolled: 1-line block ×5, first 2 shown]
	v_sub_f16_e32 v11, v12, v11
	v_sub_f16_e32 v12, v48, v24
	v_add_lshl_u32 v48, v8, v9, 2
	v_pack_b32_f16 v8, v13, v60
	v_pack_b32_f16 v9, v25, v32
	v_add_f16_e32 v59, v52, v58
	v_sub_f16_e32 v22, v50, v22
	v_sub_f16_e32 v29, v53, v29
	ds_write2_b32 v48, v8, v9 offset1:5
	v_pack_b32_f16 v8, v30, v55
	v_pack_b32_f16 v9, v57, v26
	v_sub_f16_e32 v23, v54, v23
	v_sub_f16_e32 v28, v56, v28
	v_sub_f16_e32 v27, v31, v27
	v_sub_f16_e32 v14, v14, v15
	ds_write2_b32 v48, v8, v9 offset0:10 offset1:15
	v_pack_b32_f16 v8, v59, v49
	v_pack_b32_f16 v9, v22, v29
	v_sub_f16_e32 v10, v10, v51
	v_sub_f16_e32 v50, v52, v58
	ds_write2_b32 v48, v8, v9 offset0:20 offset1:25
	v_pack_b32_f16 v8, v23, v27
	v_pack_b32_f16 v9, v28, v14
	ds_write2_b32 v48, v8, v9 offset0:30 offset1:35
	v_pack_b32_f16 v8, v10, v11
	v_pack_b32_f16 v9, v50, v12
	ds_write2_b32 v48, v8, v9 offset0:40 offset1:45
	v_mov_b32_e32 v8, 41
	v_mul_lo_u16_sdwa v8, v42, v8 dst_sel:DWORD dst_unused:UNUSED_PAD src0_sel:BYTE_0 src1_sel:DWORD
	v_lshrrev_b16_e32 v22, 11, v8
	v_mul_lo_u16_e32 v8, 50, v22
	v_sub_u16_e32 v8, v42, v8
	v_and_b32_e32 v23, 0xff, v8
	v_mad_u64_u32 v[24:25], s[2:3], v23, 36, s[14:15]
	s_waitcnt lgkmcnt(0)
	s_barrier
	global_load_dwordx4 v[8:11], v[24:25], off offset:180
	global_load_dwordx4 v[12:15], v[24:25], off offset:196
	global_load_dword v49, v[24:25], off offset:212
	ds_read2_b32 v[24:25], v37 offset1:150
	ds_read2_b32 v[26:27], v18 offset0:44 offset1:194
	ds_read2_b32 v[28:29], v20 offset0:88 offset1:238
	;; [unrolled: 1-line block ×4, first 2 shown]
	s_waitcnt lgkmcnt(4)
	v_lshrrev_b32_e32 v50, 16, v25
	s_waitcnt lgkmcnt(3)
	v_lshrrev_b32_e32 v51, 16, v26
	v_lshrrev_b32_e32 v52, 16, v27
	s_waitcnt lgkmcnt(2)
	v_lshrrev_b32_e32 v53, 16, v28
	;; [unrolled: 3-line block ×4, first 2 shown]
	v_lshrrev_b32_e32 v58, 16, v21
	v_lshrrev_b32_e32 v32, 16, v24
	s_waitcnt vmcnt(0)
	s_barrier
	s_load_dwordx2 s[2:3], s[4:5], 0x38
	v_mul_f16_sdwa v59, v50, v8 dst_sel:DWORD dst_unused:UNUSED_PAD src0_sel:DWORD src1_sel:WORD_1
	v_fma_f16 v59, v25, v8, -v59
	v_mul_f16_sdwa v25, v25, v8 dst_sel:DWORD dst_unused:UNUSED_PAD src0_sel:DWORD src1_sel:WORD_1
	v_fma_f16 v25, v50, v8, v25
	v_mul_f16_sdwa v50, v51, v9 dst_sel:DWORD dst_unused:UNUSED_PAD src0_sel:DWORD src1_sel:WORD_1
	v_fma_f16 v50, v26, v9, -v50
	v_mul_f16_sdwa v26, v26, v9 dst_sel:DWORD dst_unused:UNUSED_PAD src0_sel:DWORD src1_sel:WORD_1
	v_fma_f16 v26, v51, v9, v26
	v_mul_f16_sdwa v51, v52, v10 dst_sel:DWORD dst_unused:UNUSED_PAD src0_sel:DWORD src1_sel:WORD_1
	v_fma_f16 v51, v27, v10, -v51
	v_mul_f16_sdwa v27, v27, v10 dst_sel:DWORD dst_unused:UNUSED_PAD src0_sel:DWORD src1_sel:WORD_1
	v_fma_f16 v27, v52, v10, v27
	v_mul_f16_sdwa v52, v53, v11 dst_sel:DWORD dst_unused:UNUSED_PAD src0_sel:DWORD src1_sel:WORD_1
	v_fma_f16 v52, v28, v11, -v52
	v_mul_f16_sdwa v28, v28, v11 dst_sel:DWORD dst_unused:UNUSED_PAD src0_sel:DWORD src1_sel:WORD_1
	v_fma_f16 v28, v53, v11, v28
	v_mul_f16_sdwa v53, v54, v12 dst_sel:DWORD dst_unused:UNUSED_PAD src0_sel:DWORD src1_sel:WORD_1
	v_fma_f16 v53, v29, v12, -v53
	v_mul_f16_sdwa v29, v29, v12 dst_sel:DWORD dst_unused:UNUSED_PAD src0_sel:DWORD src1_sel:WORD_1
	v_fma_f16 v29, v54, v12, v29
	v_mul_f16_sdwa v54, v55, v13 dst_sel:DWORD dst_unused:UNUSED_PAD src0_sel:DWORD src1_sel:WORD_1
	v_fma_f16 v54, v30, v13, -v54
	v_mul_f16_sdwa v30, v30, v13 dst_sel:DWORD dst_unused:UNUSED_PAD src0_sel:DWORD src1_sel:WORD_1
	v_fma_f16 v30, v55, v13, v30
	v_mul_f16_sdwa v55, v56, v14 dst_sel:DWORD dst_unused:UNUSED_PAD src0_sel:DWORD src1_sel:WORD_1
	v_fma_f16 v55, v31, v14, -v55
	v_mul_f16_sdwa v31, v31, v14 dst_sel:DWORD dst_unused:UNUSED_PAD src0_sel:DWORD src1_sel:WORD_1
	v_fma_f16 v31, v56, v14, v31
	v_mul_f16_sdwa v56, v57, v15 dst_sel:DWORD dst_unused:UNUSED_PAD src0_sel:DWORD src1_sel:WORD_1
	v_fma_f16 v56, v20, v15, -v56
	v_mul_f16_sdwa v20, v20, v15 dst_sel:DWORD dst_unused:UNUSED_PAD src0_sel:DWORD src1_sel:WORD_1
	v_fma_f16 v20, v57, v15, v20
	v_add_f16_e32 v60, v52, v54
	v_fma_f16 v60, v60, -0.5, v24
	v_sub_f16_e32 v61, v26, v20
	v_fma_f16 v62, v61, s1, v60
	v_sub_f16_e32 v63, v28, v30
	v_sub_f16_e32 v64, v50, v52
	;; [unrolled: 1-line block ×3, first 2 shown]
	v_fma_f16 v60, v61, s16, v60
	v_mul_f16_sdwa v57, v58, v49 dst_sel:DWORD dst_unused:UNUSED_PAD src0_sel:DWORD src1_sel:WORD_1
	v_fma_f16 v62, v63, s6, v62
	v_add_f16_e32 v64, v64, v65
	v_fma_f16 v60, v63, s7, v60
	v_fma_f16 v57, v21, v49, -v57
	v_mul_f16_sdwa v21, v21, v49 dst_sel:DWORD dst_unused:UNUSED_PAD src0_sel:DWORD src1_sel:WORD_1
	v_fma_f16 v62, v64, s0, v62
	v_fma_f16 v60, v64, s0, v60
	v_add_f16_e32 v64, v50, v56
	v_fma_f16 v21, v58, v49, v21
	v_add_f16_e32 v58, v24, v50
	v_fma_f16 v24, v64, -0.5, v24
	v_add_f16_e32 v58, v58, v52
	v_fma_f16 v64, v63, s16, v24
	v_fma_f16 v24, v63, s1, v24
	v_add_f16_e32 v63, v28, v30
	v_add_f16_e32 v58, v58, v54
	v_sub_f16_e32 v65, v52, v50
	v_sub_f16_e32 v66, v54, v56
	v_fma_f16 v63, v63, -0.5, v32
	v_sub_f16_e32 v50, v50, v56
	v_add_f16_e32 v58, v58, v56
	v_fma_f16 v64, v61, s6, v64
	v_add_f16_e32 v65, v65, v66
	v_fma_f16 v24, v61, s7, v24
	v_fma_f16 v56, v50, s16, v63
	v_sub_f16_e32 v52, v52, v54
	v_fma_f16 v64, v65, s0, v64
	v_fma_f16 v24, v65, s0, v24
	;; [unrolled: 1-line block ×3, first 2 shown]
	v_sub_f16_e32 v56, v26, v28
	v_sub_f16_e32 v65, v20, v30
	v_fma_f16 v63, v50, s1, v63
	v_add_f16_e32 v61, v32, v26
	v_add_f16_e32 v56, v56, v65
	v_fma_f16 v63, v52, s6, v63
	v_add_f16_e32 v61, v61, v28
	v_fma_f16 v54, v56, s0, v54
	v_fma_f16 v56, v56, s0, v63
	v_add_f16_e32 v63, v26, v20
	v_add_f16_e32 v61, v61, v30
	v_fma_f16 v32, v63, -0.5, v32
	v_add_f16_e32 v61, v61, v20
	v_fma_f16 v63, v52, s1, v32
	v_sub_f16_e32 v26, v28, v26
	v_sub_f16_e32 v20, v30, v20
	v_add_f16_e32 v30, v53, v55
	v_fma_f16 v63, v50, s7, v63
	v_add_f16_e32 v20, v26, v20
	v_fma_f16 v28, v52, s16, v32
	v_fma_f16 v30, v30, -0.5, v59
	v_sub_f16_e32 v32, v27, v21
	v_fma_f16 v26, v20, s0, v63
	v_fma_f16 v28, v50, s6, v28
	;; [unrolled: 1-line block ×3, first 2 shown]
	v_sub_f16_e32 v52, v29, v31
	v_sub_f16_e32 v63, v51, v53
	;; [unrolled: 1-line block ×3, first 2 shown]
	v_fma_f16 v30, v32, s16, v30
	v_fma_f16 v50, v52, s6, v50
	v_add_f16_e32 v63, v63, v65
	v_fma_f16 v30, v52, s7, v30
	v_fma_f16 v50, v63, s0, v50
	;; [unrolled: 1-line block ×3, first 2 shown]
	v_add_f16_e32 v63, v51, v57
	v_fma_f16 v20, v20, s0, v28
	v_add_f16_e32 v28, v59, v51
	v_fma_f16 v59, v63, -0.5, v59
	v_add_f16_e32 v28, v28, v53
	v_fma_f16 v63, v52, s16, v59
	v_fma_f16 v52, v52, s1, v59
	v_add_f16_e32 v59, v29, v31
	v_add_f16_e32 v28, v28, v55
	v_sub_f16_e32 v65, v53, v51
	v_sub_f16_e32 v66, v55, v57
	v_fma_f16 v59, v59, -0.5, v25
	v_sub_f16_e32 v51, v51, v57
	v_add_f16_e32 v28, v28, v57
	v_fma_f16 v63, v32, s6, v63
	v_add_f16_e32 v65, v65, v66
	v_fma_f16 v32, v32, s7, v52
	v_fma_f16 v57, v51, s16, v59
	v_sub_f16_e32 v53, v53, v55
	v_fma_f16 v63, v65, s0, v63
	v_fma_f16 v32, v65, s0, v32
	;; [unrolled: 1-line block ×3, first 2 shown]
	v_sub_f16_e32 v57, v27, v29
	v_sub_f16_e32 v65, v21, v31
	v_fma_f16 v59, v51, s1, v59
	v_add_f16_e32 v52, v25, v27
	v_add_f16_e32 v57, v57, v65
	v_fma_f16 v59, v53, s6, v59
	v_add_f16_e32 v52, v52, v29
	v_fma_f16 v55, v57, s0, v55
	v_fma_f16 v57, v57, s0, v59
	v_add_f16_e32 v59, v27, v21
	v_add_f16_e32 v52, v52, v31
	v_fma_f16 v25, v59, -0.5, v25
	v_add_f16_e32 v52, v52, v21
	v_fma_f16 v59, v53, s1, v25
	v_sub_f16_e32 v27, v29, v27
	v_sub_f16_e32 v21, v31, v21
	v_fma_f16 v25, v53, s16, v25
	v_fma_f16 v59, v51, s7, v59
	v_add_f16_e32 v21, v27, v21
	v_fma_f16 v25, v51, s6, v25
	v_fma_f16 v27, v21, s0, v59
	;; [unrolled: 1-line block ×3, first 2 shown]
	v_mul_f16_e32 v29, 0x38b4, v55
	v_mul_f16_e32 v59, 0x34f2, v32
	v_fma_f16 v29, v50, s17, v29
	v_mul_f16_e32 v51, 0x3b9c, v27
	v_fma_f16 v59, v21, s1, -v59
	v_mul_f16_e32 v50, 0xb8b4, v50
	v_mul_f16_e32 v21, 0x34f2, v21
	v_fma_f16 v51, v63, s0, v51
	v_mul_f16_e32 v66, 0x3a79, v30
	v_fma_f16 v50, v55, s17, v50
	v_mul_f16_e32 v63, 0xbb9c, v63
	v_fma_f16 v21, v32, s16, -v21
	v_add_f16_e32 v25, v58, v28
	v_add_f16_e32 v31, v62, v29
	v_fma_f16 v66, v57, s6, -v66
	v_add_f16_e32 v68, v61, v52
	v_add_f16_e32 v55, v54, v50
	v_fma_f16 v27, v27, s0, v63
	v_add_f16_e32 v32, v20, v21
	v_mul_f16_e32 v57, 0x3a79, v57
	v_sub_f16_e32 v20, v20, v21
	v_mul_u32_u24_e32 v21, 0x1f4, v22
	v_add_f16_e32 v53, v64, v51
	v_add_f16_e32 v65, v24, v59
	;; [unrolled: 1-line block ×3, first 2 shown]
	v_fma_f16 v30, v30, s7, -v57
	v_sub_f16_e32 v54, v54, v50
	v_add_lshl_u32 v50, v21, v23, 2
	v_pack_b32_f16 v21, v25, v68
	v_pack_b32_f16 v22, v31, v55
	v_add_f16_e32 v67, v60, v66
	v_add_f16_e32 v57, v56, v30
	v_sub_f16_e32 v28, v58, v28
	v_sub_f16_e32 v24, v24, v59
	v_sub_f16_e32 v59, v61, v52
	ds_write2_b32 v50, v21, v22 offset1:50
	v_pack_b32_f16 v21, v53, v63
	v_pack_b32_f16 v22, v65, v32
	v_sub_f16_e32 v29, v62, v29
	v_sub_f16_e32 v58, v64, v51
	;; [unrolled: 1-line block ×3, first 2 shown]
	ds_write2_b32 v50, v21, v22 offset0:100 offset1:150
	v_pack_b32_f16 v21, v67, v57
	v_pack_b32_f16 v22, v28, v59
	v_sub_f16_e32 v51, v60, v66
	v_sub_f16_e32 v52, v56, v30
	ds_write2_b32 v50, v21, v22 offset0:200 offset1:250
	v_pack_b32_f16 v21, v29, v54
	v_pack_b32_f16 v22, v58, v26
	v_add_u32_e32 v23, 0x400, v50
	ds_write2_b32 v23, v21, v22 offset0:44 offset1:94
	v_pack_b32_f16 v20, v24, v20
	v_pack_b32_f16 v21, v51, v52
	ds_write2_b32 v23, v20, v21 offset0:144 offset1:194
	s_waitcnt lgkmcnt(0)
	s_barrier
	ds_read2_b32 v[27:28], v37 offset1:150
	ds_read2_b32 v[25:26], v18 offset0:44 offset1:244
	ds_read2_b32 v[31:32], v19 offset0:104 offset1:254
	v_add_u32_e32 v53, 0xa00, v37
	ds_read2_b32 v[29:30], v53 offset0:10 offset1:160
	ds_read_b32 v58, v37 offset:5200
	v_cmp_gt_u16_e64 s[0:1], 50, v42
                                        ; implicit-def: $vgpr54
                                        ; implicit-def: $vgpr56
                                        ; implicit-def: $vgpr55
                                        ; implicit-def: $vgpr57
	s_and_saveexec_b64 s[4:5], s[0:1]
	s_cbranch_execz .LBB0_3
; %bb.2:
	ds_read_b32 v51, v37 offset:1800
	ds_read_b32 v54, v37 offset:3800
	;; [unrolled: 1-line block ×3, first 2 shown]
	s_waitcnt lgkmcnt(2)
	v_lshrrev_b32_e32 v52, 16, v51
	s_waitcnt lgkmcnt(1)
	v_lshrrev_b32_e32 v56, 16, v54
	;; [unrolled: 2-line block ×3, first 2 shown]
.LBB0_3:
	s_or_b64 exec, exec, s[4:5]
	v_lshlrev_b32_e32 v18, 3, v42
	v_lshlrev_b32_e32 v17, 3, v17
	global_load_dwordx2 v[19:20], v18, s[14:15] offset:1980
	global_load_dwordx2 v[21:22], v17, s[14:15] offset:1980
	v_add_u32_e32 v17, 0x960, v18
	global_load_dwordx2 v[23:24], v17, s[14:15] offset:1980
	v_add_co_u32_e32 v17, vcc, 0x1c2, v42
	s_movk_i32 s6, 0xffce
	v_addc_co_u32_e64 v18, s[4:5], 0, 0, vcc
	v_add_co_u32_e32 v60, vcc, s6, v42
	v_addc_co_u32_e64 v61, s[4:5], 0, -1, vcc
	v_cndmask_b32_e64 v18, v61, v18, s[0:1]
	v_cndmask_b32_e64 v17, v60, v17, s[0:1]
	v_lshlrev_b64 v[17:18], 3, v[17:18]
	v_mov_b32_e32 v59, s15
	v_add_co_u32_e32 v17, vcc, s14, v17
	v_addc_co_u32_e32 v18, vcc, v59, v18, vcc
	global_load_dwordx2 v[17:18], v[17:18], off offset:1980
	s_waitcnt lgkmcnt(3)
	v_lshrrev_b32_e32 v60, 16, v26
	s_waitcnt lgkmcnt(2)
	v_lshrrev_b32_e32 v61, 16, v31
	;; [unrolled: 2-line block ×3, first 2 shown]
	v_lshrrev_b32_e32 v64, 16, v32
	v_lshrrev_b32_e32 v66, 16, v30
	s_waitcnt lgkmcnt(0)
	v_lshrrev_b32_e32 v67, 16, v58
	v_lshrrev_b32_e32 v59, 16, v27
	s_movk_i32 s4, 0x3aee
	s_mov_b32 s5, 0xbaee
	v_lshrrev_b32_e32 v62, 16, v28
	v_lshrrev_b32_e32 v65, 16, v25
	s_waitcnt vmcnt(3)
	v_mul_f16_sdwa v68, v60, v19 dst_sel:DWORD dst_unused:UNUSED_PAD src0_sel:DWORD src1_sel:WORD_1
	v_mul_f16_sdwa v69, v26, v19 dst_sel:DWORD dst_unused:UNUSED_PAD src0_sel:DWORD src1_sel:WORD_1
	;; [unrolled: 1-line block ×4, first 2 shown]
	s_waitcnt vmcnt(2)
	v_mul_f16_sdwa v72, v63, v21 dst_sel:DWORD dst_unused:UNUSED_PAD src0_sel:DWORD src1_sel:WORD_1
	v_mul_f16_sdwa v74, v64, v22 dst_sel:DWORD dst_unused:UNUSED_PAD src0_sel:DWORD src1_sel:WORD_1
	;; [unrolled: 1-line block ×4, first 2 shown]
	v_fma_f16 v26, v26, v19, -v68
	v_fma_f16 v60, v60, v19, v69
	v_fma_f16 v31, v31, v20, -v70
	v_fma_f16 v61, v61, v20, v71
	v_fma_f16 v68, v29, v21, -v72
	v_fma_f16 v69, v32, v22, -v74
	s_waitcnt vmcnt(1)
	v_mul_f16_sdwa v29, v66, v23 dst_sel:DWORD dst_unused:UNUSED_PAD src0_sel:DWORD src1_sel:WORD_1
	v_mul_f16_sdwa v32, v30, v23 dst_sel:DWORD dst_unused:UNUSED_PAD src0_sel:DWORD src1_sel:WORD_1
	;; [unrolled: 1-line block ×4, first 2 shown]
	v_fma_f16 v72, v30, v23, -v29
	v_fma_f16 v66, v66, v23, v32
	v_fma_f16 v58, v58, v24, -v70
	v_add_f16_e32 v29, v27, v26
	v_sub_f16_e32 v32, v60, v61
	v_add_f16_e32 v70, v59, v60
	v_add_f16_e32 v60, v60, v61
	v_fma_f16 v63, v63, v21, v73
	v_fma_f16 v64, v64, v22, v75
	;; [unrolled: 1-line block ×3, first 2 shown]
	v_add_f16_e32 v30, v26, v31
	v_sub_f16_e32 v26, v26, v31
	v_add_f16_e32 v71, v28, v68
	v_add_f16_e32 v73, v68, v69
	;; [unrolled: 1-line block ×3, first 2 shown]
	v_fma_f16 v29, v60, -0.5, v59
	v_add_f16_e32 v59, v71, v69
	v_fma_f16 v28, v73, -0.5, v28
	v_fma_f16 v71, v26, s5, v29
	v_fma_f16 v73, v26, s4, v29
	s_waitcnt vmcnt(0)
	v_mul_f16_sdwa v26, v56, v17 dst_sel:DWORD dst_unused:UNUSED_PAD src0_sel:DWORD src1_sel:WORD_1
	v_fma_f16 v27, v30, -0.5, v27
	v_mul_f16_sdwa v30, v57, v18 dst_sel:DWORD dst_unused:UNUSED_PAD src0_sel:DWORD src1_sel:WORD_1
	v_fma_f16 v29, v54, v17, -v26
	v_add_f16_e32 v26, v62, v63
	v_add_f16_e32 v61, v70, v61
	v_fma_f16 v60, v32, s4, v27
	v_fma_f16 v70, v32, s5, v27
	v_mul_f16_sdwa v27, v54, v17 dst_sel:DWORD dst_unused:UNUSED_PAD src0_sel:DWORD src1_sel:WORD_1
	v_mul_f16_sdwa v32, v55, v18 dst_sel:DWORD dst_unused:UNUSED_PAD src0_sel:DWORD src1_sel:WORD_1
	v_fma_f16 v30, v55, v18, -v30
	v_add_f16_e32 v55, v26, v64
	v_add_f16_e32 v26, v63, v64
	v_fma_f16 v31, v56, v17, v27
	v_fma_f16 v26, v26, -0.5, v62
	v_sub_f16_e32 v27, v68, v69
	v_fma_f16 v32, v57, v18, v32
	v_fma_f16 v56, v27, s5, v26
	;; [unrolled: 1-line block ×3, first 2 shown]
	v_add_f16_e32 v26, v25, v72
	v_add_f16_e32 v62, v26, v58
	;; [unrolled: 1-line block ×3, first 2 shown]
	v_fma_f16 v25, v26, -0.5, v25
	v_sub_f16_e32 v26, v66, v67
	v_sub_f16_e32 v74, v63, v64
	v_fma_f16 v63, v26, s4, v25
	v_fma_f16 v64, v26, s5, v25
	v_add_f16_e32 v25, v65, v66
	v_add_f16_e32 v68, v25, v67
	;; [unrolled: 1-line block ×3, first 2 shown]
	v_fma_f16 v25, v25, -0.5, v65
	v_sub_f16_e32 v26, v72, v58
	v_fma_f16 v58, v26, s5, v25
	v_fma_f16 v65, v26, s4, v25
	v_add_f16_e32 v25, v29, v30
	v_pack_b32_f16 v60, v60, v71
	v_fma_f16 v76, v74, s4, v28
	v_fma_f16 v26, v25, -0.5, v51
	v_sub_f16_e32 v27, v31, v32
	v_pack_b32_f16 v61, v75, v61
	ds_write_b32 v37, v60 offset:2000
	v_pack_b32_f16 v60, v70, v73
	v_pack_b32_f16 v55, v59, v55
	v_fma_f16 v25, v27, s4, v26
	v_fma_f16 v26, v27, s5, v26
	v_add_f16_e32 v27, v31, v32
	ds_write_b32 v37, v60 offset:4000
	ds_write2_b32 v37, v61, v55 offset1:150
	v_pack_b32_f16 v55, v76, v56
	v_pack_b32_f16 v56, v62, v68
	v_fma_f16 v54, v74, s5, v28
	v_fma_f16 v28, v27, -0.5, v52
	v_sub_f16_e32 v66, v29, v30
	ds_write_b32 v37, v56 offset:1200
	v_pack_b32_f16 v56, v63, v58
	v_fma_f16 v27, v66, s5, v28
	v_fma_f16 v28, v66, s4, v28
	v_pack_b32_f16 v54, v54, v57
	ds_write2_b32 v53, v55, v56 offset0:10 offset1:160
	v_pack_b32_f16 v53, v64, v65
	v_add_u32_e32 v55, 0x1100, v37
	ds_write2_b32 v55, v54, v53 offset0:62 offset1:212
	s_and_saveexec_b64 s[4:5], s[0:1]
	s_cbranch_execz .LBB0_5
; %bb.4:
	v_add_f16_e32 v31, v52, v31
	v_add_f16_e32 v29, v51, v29
	;; [unrolled: 1-line block ×4, first 2 shown]
	v_pack_b32_f16 v29, v29, v31
	s_mov_b32 s6, 0x5040100
	ds_write_b32 v37, v29 offset:1800
	v_perm_b32 v29, v27, v25, s6
	ds_write_b32 v37, v29 offset:3800
	v_perm_b32 v29, v28, v26, s6
	ds_write_b32 v37, v29 offset:5800
.LBB0_5:
	s_or_b64 exec, exec, s[4:5]
	v_lshlrev_b32_e32 v29, 2, v42
	v_add_co_u32_e32 v63, vcc, s12, v29
	v_mov_b32_e32 v29, s13
	v_addc_co_u32_e32 v64, vcc, 0, v29, vcc
	v_add_co_u32_e32 v53, vcc, 0x1770, v63
	v_addc_co_u32_e32 v54, vcc, 0, v64, vcc
	v_add_co_u32_e32 v29, vcc, 0x1000, v63
	v_addc_co_u32_e32 v30, vcc, 0, v64, vcc
	s_waitcnt lgkmcnt(0)
	s_barrier
	global_load_dword v29, v[29:30], off offset:1904
	ds_read2_b32 v[51:52], v37 offset1:150
	s_movk_i32 s4, 0x2000
	v_add_co_u32_e32 v63, vcc, s4, v63
	v_addc_co_u32_e32 v64, vcc, 0, v64, vcc
	global_load_dword v65, v[63:64], off offset:2608
	s_waitcnt lgkmcnt(0)
	v_lshrrev_b32_e32 v31, 16, v51
	s_movk_i32 s4, 0x3b9c
	s_movk_i32 s5, 0x38b4
	s_mov_b32 s7, 0xffff
	s_movk_i32 s6, 0x34f2
	s_mov_b32 s12, 0xbb9c
	;; [unrolled: 2-line block ×3, first 2 shown]
	s_mov_b32 s15, 0xba79
	s_waitcnt vmcnt(1)
	v_mul_f16_sdwa v30, v31, v29 dst_sel:DWORD dst_unused:UNUSED_PAD src0_sel:DWORD src1_sel:WORD_1
	v_mul_f16_sdwa v32, v51, v29 dst_sel:DWORD dst_unused:UNUSED_PAD src0_sel:DWORD src1_sel:WORD_1
	v_fma_f16 v30, v51, v29, -v30
	v_fma_f16 v29, v31, v29, v32
	global_load_dword v31, v[53:54], off offset:1200
	v_pack_b32_f16 v29, v30, v29
	ds_write_b32 v37, v29
	v_add_u32_e32 v29, 0x400, v37
	ds_read2_b32 v[55:56], v29 offset0:44 offset1:194
	s_waitcnt lgkmcnt(0)
	v_lshrrev_b32_e32 v30, 16, v55
	s_waitcnt vmcnt(0)
	v_mul_f16_sdwa v32, v30, v31 dst_sel:DWORD dst_unused:UNUSED_PAD src0_sel:DWORD src1_sel:WORD_1
	v_mul_f16_sdwa v51, v55, v31 dst_sel:DWORD dst_unused:UNUSED_PAD src0_sel:DWORD src1_sel:WORD_1
	v_fma_f16 v32, v55, v31, -v32
	v_fma_f16 v30, v30, v31, v51
	v_pack_b32_f16 v51, v32, v30
	global_load_dword v32, v[53:54], off offset:2400
	v_add_u32_e32 v31, 0x800, v37
	ds_read2_b32 v[57:58], v31 offset0:88 offset1:238
	s_waitcnt lgkmcnt(0)
	v_lshrrev_b32_e32 v30, 16, v57
	s_waitcnt vmcnt(0)
	v_mul_f16_sdwa v55, v30, v32 dst_sel:DWORD dst_unused:UNUSED_PAD src0_sel:DWORD src1_sel:WORD_1
	v_fma_f16 v55, v57, v32, -v55
	v_mul_f16_sdwa v57, v57, v32 dst_sel:DWORD dst_unused:UNUSED_PAD src0_sel:DWORD src1_sel:WORD_1
	v_fma_f16 v30, v30, v32, v57
	global_load_dword v57, v[53:54], off offset:3600
	v_pack_b32_f16 v55, v55, v30
	v_add_u32_e32 v30, 0xe00, v37
	ds_read2_b32 v[59:60], v30 offset0:4 offset1:154
	s_waitcnt lgkmcnt(0)
	v_lshrrev_b32_e32 v32, 16, v59
	s_waitcnt vmcnt(0)
	v_mul_f16_sdwa v61, v32, v57 dst_sel:DWORD dst_unused:UNUSED_PAD src0_sel:DWORD src1_sel:WORD_1
	v_fma_f16 v61, v59, v57, -v61
	v_mul_f16_sdwa v59, v59, v57 dst_sel:DWORD dst_unused:UNUSED_PAD src0_sel:DWORD src1_sel:WORD_1
	v_fma_f16 v32, v32, v57, v59
	v_pack_b32_f16 v57, v61, v32
	v_add_u32_e32 v32, 0x1200, v37
	ds_read2_b32 v[61:62], v32 offset0:48 offset1:198
	s_waitcnt lgkmcnt(0)
	v_lshrrev_b32_e32 v59, 16, v61
	v_mul_f16_sdwa v66, v59, v65 dst_sel:DWORD dst_unused:UNUSED_PAD src0_sel:DWORD src1_sel:WORD_1
	v_fma_f16 v66, v61, v65, -v66
	v_mul_f16_sdwa v61, v61, v65 dst_sel:DWORD dst_unused:UNUSED_PAD src0_sel:DWORD src1_sel:WORD_1
	v_fma_f16 v59, v59, v65, v61
	global_load_dword v65, v[53:54], off offset:600
	v_lshrrev_b32_e32 v61, 16, v52
	v_pack_b32_f16 v59, v66, v59
	s_waitcnt vmcnt(0)
	v_mul_f16_sdwa v66, v61, v65 dst_sel:DWORD dst_unused:UNUSED_PAD src0_sel:DWORD src1_sel:WORD_1
	v_fma_f16 v66, v52, v65, -v66
	v_mul_f16_sdwa v52, v52, v65 dst_sel:DWORD dst_unused:UNUSED_PAD src0_sel:DWORD src1_sel:WORD_1
	v_fma_f16 v52, v61, v65, v52
	v_pack_b32_f16 v52, v66, v52
	v_add_u32_e32 v61, 0x200, v37
	ds_write2_b32 v61, v52, v51 offset0:22 offset1:172
	global_load_dword v52, v[53:54], off offset:1800
	v_lshrrev_b32_e32 v51, 16, v56
	s_waitcnt vmcnt(0)
	v_mul_f16_sdwa v61, v51, v52 dst_sel:DWORD dst_unused:UNUSED_PAD src0_sel:DWORD src1_sel:WORD_1
	v_fma_f16 v61, v56, v52, -v61
	v_mul_f16_sdwa v56, v56, v52 dst_sel:DWORD dst_unused:UNUSED_PAD src0_sel:DWORD src1_sel:WORD_1
	v_fma_f16 v51, v51, v52, v56
	v_pack_b32_f16 v51, v61, v51
	v_add_u32_e32 v52, 0x600, v37
	ds_write2_b32 v52, v51, v55 offset0:66 offset1:216
	global_load_dword v52, v[53:54], off offset:3000
	v_lshrrev_b32_e32 v51, 16, v58
	s_waitcnt vmcnt(0)
	v_mul_f16_sdwa v53, v51, v52 dst_sel:DWORD dst_unused:UNUSED_PAD src0_sel:DWORD src1_sel:WORD_1
	v_mul_f16_sdwa v54, v58, v52 dst_sel:DWORD dst_unused:UNUSED_PAD src0_sel:DWORD src1_sel:WORD_1
	v_fma_f16 v53, v58, v52, -v53
	v_fma_f16 v51, v51, v52, v54
	v_pack_b32_f16 v51, v53, v51
	v_add_u32_e32 v52, 0xb00, v37
	ds_write2_b32 v52, v51, v57 offset0:46 offset1:196
	global_load_dword v52, v[63:64], off offset:2008
	v_lshrrev_b32_e32 v51, 16, v60
	s_waitcnt vmcnt(0)
	v_mul_f16_sdwa v53, v51, v52 dst_sel:DWORD dst_unused:UNUSED_PAD src0_sel:DWORD src1_sel:WORD_1
	v_mul_f16_sdwa v54, v60, v52 dst_sel:DWORD dst_unused:UNUSED_PAD src0_sel:DWORD src1_sel:WORD_1
	v_fma_f16 v53, v60, v52, -v53
	;; [unrolled: 10-line block ×3, first 2 shown]
	v_fma_f16 v51, v51, v52, v54
	v_pack_b32_f16 v51, v53, v51
	ds_write_b32 v37, v51 offset:5400
	s_waitcnt lgkmcnt(0)
	s_barrier
	ds_read2_b32 v[51:52], v37 offset1:150
	ds_read2_b32 v[53:54], v29 offset0:44 offset1:194
	ds_read2_b32 v[55:56], v31 offset0:88 offset1:238
	;; [unrolled: 1-line block ×4, first 2 shown]
	s_waitcnt lgkmcnt(0)
	v_pk_add_f16 v62, v51, v53
	v_pk_add_f16 v68, v53, v55 neg_lo:[0,1] neg_hi:[0,1]
	v_pk_add_f16 v63, v55, v57
	v_pk_add_f16 v64, v53, v59 neg_lo:[0,1] neg_hi:[0,1]
	v_pk_fma_f16 v63, v63, 0.5, v51 op_sel_hi:[1,0,1] neg_lo:[1,0,0] neg_hi:[1,0,0]
	v_pk_mul_f16 v65, v64, s4 op_sel_hi:[1,0]
	v_pk_add_f16 v66, v55, v57 neg_lo:[0,1] neg_hi:[0,1]
	v_pk_add_f16 v69, v59, v57 neg_lo:[0,1] neg_hi:[0,1]
	v_pk_mul_f16 v67, v66, s5 op_sel_hi:[1,0]
	v_pk_add_f16 v68, v68, v69
	v_pk_add_f16 v69, v63, v65 op_sel:[0,1] op_sel_hi:[1,0] neg_lo:[0,1] neg_hi:[0,1]
	v_pk_add_f16 v63, v63, v65 op_sel:[0,1] op_sel_hi:[1,0]
	v_pk_add_f16 v62, v62, v55
	v_pk_add_f16 v65, v69, v67 op_sel:[0,1] op_sel_hi:[1,0] neg_lo:[0,1] neg_hi:[0,1]
	v_pk_add_f16 v63, v63, v67 op_sel:[0,1] op_sel_hi:[1,0]
	v_pk_add_f16 v62, v62, v57
	v_bfi_b32 v67, s7, v65, v63
	v_pk_add_f16 v62, v62, v59
	v_pk_fma_f16 v67, v68, s6, v67 op_sel_hi:[1,0,1]
	s_barrier
	ds_write2_b32 v46, v62, v67 offset1:1
	v_pk_add_f16 v62, v53, v59
	v_pk_add_f16 v53, v55, v53 neg_lo:[0,1] neg_hi:[0,1]
	v_pk_add_f16 v55, v57, v59 neg_lo:[0,1] neg_hi:[0,1]
	v_pk_fma_f16 v51, v62, 0.5, v51 op_sel_hi:[1,0,1] neg_lo:[1,0,0] neg_hi:[1,0,0]
	v_pk_add_f16 v53, v53, v55
	v_pk_mul_f16 v55, v66, s4 op_sel_hi:[1,0]
	v_pk_mul_f16 v57, v64, s5 op_sel_hi:[1,0]
	v_pk_add_f16 v59, v51, v55 op_sel:[0,1] op_sel_hi:[1,0]
	v_pk_add_f16 v51, v51, v55 op_sel:[0,1] op_sel_hi:[1,0] neg_lo:[0,1] neg_hi:[0,1]
	v_pk_add_f16 v55, v59, v57 op_sel:[0,1] op_sel_hi:[1,0] neg_lo:[0,1] neg_hi:[0,1]
	v_pk_add_f16 v51, v51, v57 op_sel:[0,1] op_sel_hi:[1,0]
	v_bfi_b32 v57, s7, v55, v51
	v_bfi_b32 v51, s7, v51, v55
	v_pk_fma_f16 v57, v53, s6, v57 op_sel_hi:[1,0,1]
	v_pk_fma_f16 v51, v53, s6, v51 op_sel_hi:[1,0,1]
	ds_write2_b32 v46, v57, v51 offset0:2 offset1:3
	v_bfi_b32 v51, s7, v63, v65
	v_pk_fma_f16 v51, v68, s6, v51 op_sel_hi:[1,0,1]
	ds_write_b32 v46, v51 offset:16
	v_pk_add_f16 v46, v56, v58
	v_pk_add_f16 v51, v54, v60 neg_lo:[0,1] neg_hi:[0,1]
	v_pk_fma_f16 v46, v46, 0.5, v52 op_sel_hi:[1,0,1] neg_lo:[1,0,0] neg_hi:[1,0,0]
	v_pk_mul_f16 v53, v51, s4 op_sel_hi:[1,0]
	v_pk_add_f16 v55, v56, v58 neg_lo:[0,1] neg_hi:[0,1]
	v_pk_add_f16 v59, v54, v56 neg_lo:[0,1] neg_hi:[0,1]
	;; [unrolled: 1-line block ×3, first 2 shown]
	v_pk_add_f16 v61, v52, v54
	v_pk_mul_f16 v57, v55, s5 op_sel_hi:[1,0]
	v_pk_add_f16 v59, v59, v62
	v_pk_add_f16 v62, v46, v53 op_sel:[0,1] op_sel_hi:[1,0] neg_lo:[0,1] neg_hi:[0,1]
	v_pk_add_f16 v46, v46, v53 op_sel:[0,1] op_sel_hi:[1,0]
	v_pk_add_f16 v61, v61, v56
	v_pk_add_f16 v53, v62, v57 op_sel:[0,1] op_sel_hi:[1,0] neg_lo:[0,1] neg_hi:[0,1]
	v_pk_add_f16 v46, v46, v57 op_sel:[0,1] op_sel_hi:[1,0]
	v_pk_add_f16 v61, v61, v58
	v_bfi_b32 v57, s7, v53, v46
	v_pk_add_f16 v61, v61, v60
	v_pk_fma_f16 v57, v59, s6, v57 op_sel_hi:[1,0,1]
	ds_write2_b32 v45, v61, v57 offset1:1
	v_pk_add_f16 v57, v54, v60
	v_pk_fma_f16 v52, v57, 0.5, v52 op_sel_hi:[1,0,1] neg_lo:[1,0,0] neg_hi:[1,0,0]
	v_pk_add_f16 v54, v56, v54 neg_lo:[0,1] neg_hi:[0,1]
	v_pk_add_f16 v56, v58, v60 neg_lo:[0,1] neg_hi:[0,1]
	v_pk_mul_f16 v55, v55, s4 op_sel_hi:[1,0]
	v_pk_add_f16 v54, v54, v56
	v_pk_mul_f16 v51, v51, s5 op_sel_hi:[1,0]
	v_pk_add_f16 v56, v52, v55 op_sel:[0,1] op_sel_hi:[1,0]
	v_pk_add_f16 v52, v52, v55 op_sel:[0,1] op_sel_hi:[1,0] neg_lo:[0,1] neg_hi:[0,1]
	v_pk_add_f16 v55, v56, v51 op_sel:[0,1] op_sel_hi:[1,0] neg_lo:[0,1] neg_hi:[0,1]
	v_pk_add_f16 v51, v52, v51 op_sel:[0,1] op_sel_hi:[1,0]
	v_bfi_b32 v52, s7, v55, v51
	v_bfi_b32 v51, s7, v51, v55
	;; [unrolled: 1-line block ×3, first 2 shown]
	v_pk_fma_f16 v52, v54, s6, v52 op_sel_hi:[1,0,1]
	v_pk_fma_f16 v51, v54, s6, v51 op_sel_hi:[1,0,1]
	;; [unrolled: 1-line block ×3, first 2 shown]
	ds_write2_b32 v45, v52, v51 offset0:2 offset1:3
	ds_write_b32 v45, v46 offset:16
	s_waitcnt lgkmcnt(0)
	s_barrier
	ds_read2_b32 v[45:46], v37 offset1:150
	ds_read2_b32 v[51:52], v29 offset0:44 offset1:194
	ds_read2_b32 v[53:54], v31 offset0:88 offset1:238
	;; [unrolled: 1-line block ×4, first 2 shown]
	s_waitcnt lgkmcnt(4)
	v_lshrrev_b32_e32 v60, 16, v46
	v_mul_f16_sdwa v69, v0, v60 dst_sel:DWORD dst_unused:UNUSED_PAD src0_sel:WORD_1 src1_sel:DWORD
	s_waitcnt lgkmcnt(3)
	v_lshrrev_b32_e32 v61, 16, v51
	v_fma_f16 v69, v0, v46, v69
	v_mul_f16_sdwa v46, v0, v46 dst_sel:DWORD dst_unused:UNUSED_PAD src0_sel:WORD_1 src1_sel:DWORD
	v_fma_f16 v0, v0, v60, -v46
	v_mul_f16_sdwa v46, v1, v61 dst_sel:DWORD dst_unused:UNUSED_PAD src0_sel:WORD_1 src1_sel:DWORD
	v_lshrrev_b32_e32 v62, 16, v52
	v_fma_f16 v46, v1, v51, v46
	v_mul_f16_sdwa v51, v1, v51 dst_sel:DWORD dst_unused:UNUSED_PAD src0_sel:WORD_1 src1_sel:DWORD
	v_fma_f16 v1, v1, v61, -v51
	v_mul_f16_sdwa v51, v2, v62 dst_sel:DWORD dst_unused:UNUSED_PAD src0_sel:WORD_1 src1_sel:DWORD
	s_waitcnt lgkmcnt(2)
	v_lshrrev_b32_e32 v63, 16, v53
	v_fma_f16 v51, v2, v52, v51
	v_mul_f16_sdwa v52, v2, v52 dst_sel:DWORD dst_unused:UNUSED_PAD src0_sel:WORD_1 src1_sel:DWORD
	v_fma_f16 v2, v2, v62, -v52
	v_mul_f16_sdwa v52, v3, v63 dst_sel:DWORD dst_unused:UNUSED_PAD src0_sel:WORD_1 src1_sel:DWORD
	v_lshrrev_b32_e32 v64, 16, v54
	v_fma_f16 v52, v3, v53, v52
	v_mul_f16_sdwa v53, v3, v53 dst_sel:DWORD dst_unused:UNUSED_PAD src0_sel:WORD_1 src1_sel:DWORD
	v_fma_f16 v3, v3, v63, -v53
	;; [unrolled: 11-line block ×3, first 2 shown]
	v_mul_f16_sdwa v55, v6, v66 dst_sel:DWORD dst_unused:UNUSED_PAD src0_sel:WORD_1 src1_sel:DWORD
	s_waitcnt lgkmcnt(0)
	v_lshrrev_b32_e32 v67, 16, v57
	v_fma_f16 v55, v6, v56, v55
	v_mul_f16_sdwa v56, v6, v56 dst_sel:DWORD dst_unused:UNUSED_PAD src0_sel:WORD_1 src1_sel:DWORD
	v_fma_f16 v6, v6, v66, -v56
	v_mul_f16_sdwa v56, v7, v67 dst_sel:DWORD dst_unused:UNUSED_PAD src0_sel:WORD_1 src1_sel:DWORD
	v_fma_f16 v56, v7, v57, v56
	v_mul_f16_sdwa v57, v7, v57 dst_sel:DWORD dst_unused:UNUSED_PAD src0_sel:WORD_1 src1_sel:DWORD
	v_fma_f16 v7, v7, v67, -v57
	v_add_f16_e32 v60, v52, v54
	v_fma_f16 v60, v60, -0.5, v45
	v_sub_f16_e32 v61, v1, v7
	v_lshrrev_b32_e32 v68, 16, v58
	v_fma_f16 v62, v61, s12, v60
	v_sub_f16_e32 v63, v3, v5
	s_mov_b32 s7, 0xb8b4
	v_sub_f16_e32 v64, v46, v52
	v_sub_f16_e32 v65, v56, v54
	v_fma_f16 v60, v61, s4, v60
	v_mul_f16_sdwa v57, v47, v68 dst_sel:DWORD dst_unused:UNUSED_PAD src0_sel:WORD_1 src1_sel:DWORD
	v_fma_f16 v62, v63, s7, v62
	v_add_f16_e32 v64, v64, v65
	v_fma_f16 v60, v63, s5, v60
	v_fma_f16 v57, v47, v58, v57
	v_mul_f16_sdwa v58, v47, v58 dst_sel:DWORD dst_unused:UNUSED_PAD src0_sel:WORD_1 src1_sel:DWORD
	v_fma_f16 v62, v64, s6, v62
	v_fma_f16 v60, v64, s6, v60
	v_add_f16_e32 v64, v46, v56
	v_lshrrev_b32_e32 v59, 16, v45
	v_fma_f16 v47, v47, v68, -v58
	v_add_f16_e32 v58, v45, v46
	v_fma_f16 v45, v64, -0.5, v45
	v_add_f16_e32 v58, v58, v52
	v_fma_f16 v64, v63, s4, v45
	v_fma_f16 v45, v63, s12, v45
	v_add_f16_e32 v63, v3, v5
	v_add_f16_e32 v58, v58, v54
	v_sub_f16_e32 v65, v52, v46
	v_sub_f16_e32 v66, v54, v56
	v_fma_f16 v63, v63, -0.5, v59
	v_sub_f16_e32 v46, v46, v56
	v_add_f16_e32 v58, v58, v56
	v_fma_f16 v64, v61, s7, v64
	v_add_f16_e32 v65, v65, v66
	v_fma_f16 v45, v61, s5, v45
	v_fma_f16 v56, v46, s4, v63
	v_sub_f16_e32 v52, v52, v54
	v_fma_f16 v64, v65, s6, v64
	v_fma_f16 v45, v65, s6, v45
	;; [unrolled: 1-line block ×3, first 2 shown]
	v_sub_f16_e32 v56, v1, v3
	v_sub_f16_e32 v65, v7, v5
	v_fma_f16 v63, v46, s12, v63
	v_add_f16_e32 v61, v59, v1
	v_add_f16_e32 v56, v56, v65
	v_fma_f16 v63, v52, s7, v63
	v_add_f16_e32 v61, v61, v3
	v_fma_f16 v54, v56, s6, v54
	v_fma_f16 v56, v56, s6, v63
	v_add_f16_e32 v63, v1, v7
	v_add_f16_e32 v61, v61, v5
	v_fma_f16 v59, v63, -0.5, v59
	v_add_f16_e32 v61, v61, v7
	v_fma_f16 v63, v52, s12, v59
	v_sub_f16_e32 v1, v3, v1
	v_sub_f16_e32 v3, v5, v7
	v_fma_f16 v5, v52, s4, v59
	v_add_f16_e32 v7, v53, v55
	v_fma_f16 v63, v46, s5, v63
	v_add_f16_e32 v1, v1, v3
	v_fma_f16 v5, v46, s7, v5
	v_fma_f16 v7, v7, -0.5, v69
	v_sub_f16_e32 v46, v2, v47
	v_fma_f16 v3, v1, s6, v63
	v_fma_f16 v52, v46, s12, v7
	v_sub_f16_e32 v59, v4, v6
	v_sub_f16_e32 v63, v51, v53
	;; [unrolled: 1-line block ×3, first 2 shown]
	v_fma_f16 v7, v46, s4, v7
	v_fma_f16 v52, v59, s7, v52
	v_add_f16_e32 v63, v63, v65
	v_fma_f16 v7, v59, s5, v7
	v_fma_f16 v52, v63, s6, v52
	;; [unrolled: 1-line block ×3, first 2 shown]
	v_add_f16_e32 v63, v51, v57
	v_fma_f16 v1, v1, s6, v5
	v_add_f16_e32 v5, v69, v51
	v_fma_f16 v63, v63, -0.5, v69
	v_add_f16_e32 v5, v5, v53
	v_fma_f16 v65, v59, s4, v63
	v_fma_f16 v59, v59, s12, v63
	v_add_f16_e32 v63, v4, v6
	v_add_f16_e32 v5, v5, v55
	v_sub_f16_e32 v66, v53, v51
	v_sub_f16_e32 v67, v55, v57
	v_fma_f16 v63, v63, -0.5, v0
	v_sub_f16_e32 v51, v51, v57
	v_add_f16_e32 v5, v5, v57
	v_fma_f16 v65, v46, s7, v65
	v_add_f16_e32 v66, v66, v67
	v_fma_f16 v46, v46, s5, v59
	v_fma_f16 v57, v51, s4, v63
	v_sub_f16_e32 v53, v53, v55
	v_fma_f16 v65, v66, s6, v65
	v_fma_f16 v46, v66, s6, v46
	;; [unrolled: 1-line block ×3, first 2 shown]
	v_sub_f16_e32 v57, v2, v4
	v_sub_f16_e32 v66, v47, v6
	v_fma_f16 v63, v51, s12, v63
	v_add_f16_e32 v57, v57, v66
	v_fma_f16 v63, v53, s7, v63
	v_fma_f16 v55, v57, s6, v55
	;; [unrolled: 1-line block ×3, first 2 shown]
	v_add_f16_e32 v63, v2, v47
	v_add_f16_e32 v59, v0, v2
	v_fma_f16 v0, v63, -0.5, v0
	v_add_f16_e32 v59, v59, v4
	v_fma_f16 v63, v53, s12, v0
	v_sub_f16_e32 v2, v4, v2
	v_sub_f16_e32 v4, v6, v47
	v_fma_f16 v0, v53, s4, v0
	v_fma_f16 v63, v51, s5, v63
	v_add_f16_e32 v2, v2, v4
	v_fma_f16 v0, v51, s7, v0
	v_add_f16_e32 v59, v59, v6
	v_fma_f16 v4, v2, s6, v63
	v_fma_f16 v0, v2, s6, v0
	v_mul_f16_e32 v6, 0xb8b4, v55
	v_mul_f16_e32 v55, 0x3a79, v55
	v_add_f16_e32 v59, v59, v47
	v_fma_f16 v6, v52, s13, v6
	v_mul_f16_e32 v51, 0xbb9c, v4
	v_mul_f16_e32 v63, 0xbb9c, v0
	v_fma_f16 v52, v52, s5, v55
	v_mul_f16_e32 v4, 0x34f2, v4
	v_mul_f16_e32 v0, 0xb4f2, v0
	v_add_f16_e32 v2, v58, v5
	v_add_f16_e32 v47, v62, v6
	v_fma_f16 v51, v65, s6, v51
	v_fma_f16 v63, v46, s14, v63
	v_mul_f16_e32 v67, 0xb8b4, v57
	v_add_f16_e32 v69, v61, v59
	v_add_f16_e32 v55, v54, v52
	v_fma_f16 v4, v65, s4, v4
	v_fma_f16 v0, v46, s4, v0
	v_mul_f16_e32 v57, 0xba79, v57
	v_add_f16_e32 v53, v64, v51
	v_add_f16_e32 v66, v45, v63
	v_fma_f16 v67, v7, s15, v67
	v_add_f16_e32 v65, v3, v4
	v_add_f16_e32 v46, v1, v0
	v_fma_f16 v7, v7, s5, v57
	v_sub_f16_e32 v3, v3, v4
	v_pack_b32_f16 v2, v2, v69
	v_pack_b32_f16 v4, v47, v55
	v_add_f16_e32 v68, v60, v67
	v_add_f16_e32 v57, v56, v7
	v_sub_f16_e32 v5, v58, v5
	v_sub_f16_e32 v59, v61, v59
	s_barrier
	ds_write2_b32 v48, v2, v4 offset1:5
	v_pack_b32_f16 v2, v53, v65
	v_pack_b32_f16 v4, v66, v46
	v_sub_f16_e32 v6, v62, v6
	v_sub_f16_e32 v51, v64, v51
	v_sub_f16_e32 v45, v45, v63
	v_sub_f16_e32 v58, v60, v67
	v_sub_f16_e32 v52, v54, v52
	v_sub_f16_e32 v0, v1, v0
	v_sub_f16_e32 v1, v56, v7
	ds_write2_b32 v48, v2, v4 offset0:10 offset1:15
	v_pack_b32_f16 v2, v68, v57
	v_pack_b32_f16 v4, v5, v59
	ds_write2_b32 v48, v2, v4 offset0:20 offset1:25
	v_pack_b32_f16 v2, v6, v52
	v_pack_b32_f16 v3, v51, v3
	;; [unrolled: 1-line block ×4, first 2 shown]
	ds_write2_b32 v48, v2, v3 offset0:30 offset1:35
	ds_write2_b32 v48, v0, v1 offset0:40 offset1:45
	s_waitcnt lgkmcnt(0)
	s_barrier
	ds_read2_b32 v[0:1], v37 offset1:150
	ds_read2_b32 v[2:3], v29 offset0:44 offset1:194
	ds_read2_b32 v[4:5], v31 offset0:88 offset1:238
	;; [unrolled: 1-line block ×4, first 2 shown]
	s_waitcnt lgkmcnt(4)
	v_lshrrev_b32_e32 v46, 16, v1
	v_mul_f16_sdwa v57, v8, v46 dst_sel:DWORD dst_unused:UNUSED_PAD src0_sel:WORD_1 src1_sel:DWORD
	s_waitcnt lgkmcnt(3)
	v_lshrrev_b32_e32 v47, 16, v2
	v_fma_f16 v57, v8, v1, v57
	v_mul_f16_sdwa v1, v8, v1 dst_sel:DWORD dst_unused:UNUSED_PAD src0_sel:WORD_1 src1_sel:DWORD
	v_fma_f16 v1, v8, v46, -v1
	v_mul_f16_sdwa v8, v9, v47 dst_sel:DWORD dst_unused:UNUSED_PAD src0_sel:WORD_1 src1_sel:DWORD
	v_lshrrev_b32_e32 v48, 16, v3
	v_fma_f16 v8, v9, v2, v8
	v_mul_f16_sdwa v2, v9, v2 dst_sel:DWORD dst_unused:UNUSED_PAD src0_sel:WORD_1 src1_sel:DWORD
	v_fma_f16 v2, v9, v47, -v2
	v_mul_f16_sdwa v9, v10, v48 dst_sel:DWORD dst_unused:UNUSED_PAD src0_sel:WORD_1 src1_sel:DWORD
	s_waitcnt lgkmcnt(2)
	v_lshrrev_b32_e32 v51, 16, v4
	v_fma_f16 v9, v10, v3, v9
	v_mul_f16_sdwa v3, v10, v3 dst_sel:DWORD dst_unused:UNUSED_PAD src0_sel:WORD_1 src1_sel:DWORD
	v_fma_f16 v3, v10, v48, -v3
	v_mul_f16_sdwa v10, v11, v51 dst_sel:DWORD dst_unused:UNUSED_PAD src0_sel:WORD_1 src1_sel:DWORD
	v_lshrrev_b32_e32 v52, 16, v5
	v_fma_f16 v10, v11, v4, v10
	v_mul_f16_sdwa v4, v11, v4 dst_sel:DWORD dst_unused:UNUSED_PAD src0_sel:WORD_1 src1_sel:DWORD
	v_fma_f16 v4, v11, v51, -v4
	;; [unrolled: 11-line block ×4, first 2 shown]
	v_mul_f16_sdwa v31, v49, v56 dst_sel:DWORD dst_unused:UNUSED_PAD src0_sel:WORD_1 src1_sel:DWORD
	v_add_f16_e32 v47, v10, v12
	v_fma_f16 v31, v49, v32, v31
	v_mul_f16_sdwa v32, v49, v32 dst_sel:DWORD dst_unused:UNUSED_PAD src0_sel:WORD_1 src1_sel:DWORD
	v_fma_f16 v47, v47, -0.5, v0
	v_sub_f16_e32 v48, v2, v15
	v_fma_f16 v32, v49, v56, -v32
	v_fma_f16 v49, v48, s12, v47
	v_sub_f16_e32 v51, v4, v6
	v_sub_f16_e32 v52, v8, v10
	;; [unrolled: 1-line block ×3, first 2 shown]
	v_fma_f16 v47, v48, s4, v47
	v_fma_f16 v49, v51, s7, v49
	v_add_f16_e32 v52, v52, v53
	v_fma_f16 v47, v51, s5, v47
	v_fma_f16 v49, v52, s6, v49
	v_fma_f16 v47, v52, s6, v47
	v_add_f16_e32 v52, v8, v14
	v_lshrrev_b32_e32 v45, 16, v0
	v_add_f16_e32 v46, v0, v8
	v_fma_f16 v0, v52, -0.5, v0
	v_add_f16_e32 v46, v46, v10
	v_fma_f16 v52, v51, s4, v0
	v_fma_f16 v0, v51, s12, v0
	v_add_f16_e32 v51, v4, v6
	v_add_f16_e32 v46, v46, v12
	v_sub_f16_e32 v53, v10, v8
	v_sub_f16_e32 v54, v12, v14
	v_fma_f16 v51, v51, -0.5, v45
	v_sub_f16_e32 v8, v8, v14
	v_add_f16_e32 v46, v46, v14
	v_fma_f16 v52, v48, s7, v52
	v_add_f16_e32 v53, v53, v54
	v_fma_f16 v0, v48, s5, v0
	v_fma_f16 v14, v8, s4, v51
	v_sub_f16_e32 v10, v10, v12
	v_fma_f16 v52, v53, s6, v52
	v_fma_f16 v0, v53, s6, v0
	;; [unrolled: 1-line block ×3, first 2 shown]
	v_sub_f16_e32 v14, v2, v4
	v_sub_f16_e32 v53, v15, v6
	v_fma_f16 v51, v8, s12, v51
	v_add_f16_e32 v14, v14, v53
	v_fma_f16 v51, v10, s7, v51
	v_add_f16_e32 v48, v45, v2
	v_fma_f16 v12, v14, s6, v12
	v_fma_f16 v14, v14, s6, v51
	v_add_f16_e32 v51, v2, v15
	v_add_f16_e32 v48, v48, v4
	v_fma_f16 v45, v51, -0.5, v45
	v_add_f16_e32 v48, v48, v6
	v_fma_f16 v51, v10, s12, v45
	v_sub_f16_e32 v2, v4, v2
	v_sub_f16_e32 v4, v6, v15
	v_fma_f16 v6, v10, s4, v45
	v_fma_f16 v51, v8, s5, v51
	;; [unrolled: 1-line block ×3, first 2 shown]
	v_add_f16_e32 v8, v11, v13
	v_add_f16_e32 v2, v2, v4
	v_fma_f16 v8, v8, -0.5, v57
	v_sub_f16_e32 v10, v3, v32
	v_add_f16_e32 v48, v48, v15
	v_fma_f16 v4, v2, s6, v51
	v_fma_f16 v15, v10, s12, v8
	v_sub_f16_e32 v45, v5, v7
	v_sub_f16_e32 v51, v9, v11
	;; [unrolled: 1-line block ×3, first 2 shown]
	v_fma_f16 v8, v10, s4, v8
	v_fma_f16 v15, v45, s7, v15
	v_add_f16_e32 v51, v51, v53
	v_fma_f16 v8, v45, s5, v8
	v_fma_f16 v15, v51, s6, v15
	v_fma_f16 v8, v51, s6, v8
	v_add_f16_e32 v51, v9, v31
	v_fma_f16 v2, v2, s6, v6
	v_add_f16_e32 v6, v57, v9
	v_fma_f16 v51, v51, -0.5, v57
	v_add_f16_e32 v6, v6, v11
	v_fma_f16 v53, v45, s4, v51
	v_fma_f16 v45, v45, s12, v51
	v_add_f16_e32 v51, v5, v7
	v_add_f16_e32 v6, v6, v13
	v_sub_f16_e32 v54, v11, v9
	v_sub_f16_e32 v55, v13, v31
	v_fma_f16 v51, v51, -0.5, v1
	v_sub_f16_e32 v9, v9, v31
	v_add_f16_e32 v6, v6, v31
	v_fma_f16 v53, v10, s7, v53
	v_add_f16_e32 v54, v54, v55
	v_fma_f16 v10, v10, s5, v45
	v_fma_f16 v31, v9, s4, v51
	v_sub_f16_e32 v11, v11, v13
	v_fma_f16 v53, v54, s6, v53
	v_fma_f16 v10, v54, s6, v10
	;; [unrolled: 1-line block ×3, first 2 shown]
	v_sub_f16_e32 v31, v3, v5
	v_sub_f16_e32 v54, v32, v7
	v_fma_f16 v51, v9, s12, v51
	v_add_f16_e32 v31, v31, v54
	v_fma_f16 v51, v11, s7, v51
	v_fma_f16 v13, v31, s6, v13
	;; [unrolled: 1-line block ×3, first 2 shown]
	v_add_f16_e32 v51, v3, v32
	v_add_f16_e32 v45, v1, v3
	v_fma_f16 v1, v51, -0.5, v1
	v_add_f16_e32 v45, v45, v5
	v_fma_f16 v51, v11, s12, v1
	v_sub_f16_e32 v3, v5, v3
	v_sub_f16_e32 v5, v7, v32
	v_fma_f16 v1, v11, s4, v1
	v_fma_f16 v51, v9, s5, v51
	v_add_f16_e32 v3, v3, v5
	v_fma_f16 v1, v9, s7, v1
	v_add_f16_e32 v45, v45, v7
	v_fma_f16 v5, v3, s6, v51
	v_fma_f16 v1, v3, s6, v1
	v_mul_f16_e32 v7, 0xb8b4, v13
	v_mul_f16_e32 v13, 0x3a79, v13
	v_add_f16_e32 v45, v45, v32
	v_fma_f16 v7, v15, s13, v7
	v_mul_f16_e32 v9, 0xbb9c, v5
	v_mul_f16_e32 v51, 0xbb9c, v1
	v_fma_f16 v13, v15, s5, v13
	v_mul_f16_e32 v5, 0x34f2, v5
	v_mul_f16_e32 v1, 0xb4f2, v1
	v_add_f16_e32 v3, v46, v6
	v_add_f16_e32 v11, v49, v7
	v_fma_f16 v9, v53, s6, v9
	v_fma_f16 v51, v10, s14, v51
	v_mul_f16_e32 v55, 0xb8b4, v31
	v_add_f16_e32 v57, v48, v45
	v_add_f16_e32 v15, v12, v13
	v_fma_f16 v5, v53, s4, v5
	v_fma_f16 v1, v10, s4, v1
	v_mul_f16_e32 v31, 0xba79, v31
	v_add_f16_e32 v32, v52, v9
	v_add_f16_e32 v54, v0, v51
	v_fma_f16 v55, v8, s15, v55
	v_add_f16_e32 v53, v4, v5
	v_add_f16_e32 v10, v2, v1
	v_fma_f16 v31, v8, s5, v31
	v_sub_f16_e32 v1, v2, v1
	v_pack_b32_f16 v2, v3, v57
	v_pack_b32_f16 v3, v11, v15
	v_add_f16_e32 v56, v47, v55
	v_add_f16_e32 v58, v14, v31
	v_sub_f16_e32 v6, v46, v6
	v_sub_f16_e32 v45, v48, v45
	s_barrier
	ds_write2_b32 v50, v2, v3 offset1:50
	v_pack_b32_f16 v2, v32, v53
	v_pack_b32_f16 v3, v54, v10
	v_sub_f16_e32 v7, v49, v7
	v_sub_f16_e32 v46, v52, v9
	;; [unrolled: 1-line block ×7, first 2 shown]
	ds_write2_b32 v50, v2, v3 offset0:100 offset1:150
	v_pack_b32_f16 v2, v56, v58
	v_pack_b32_f16 v3, v6, v45
	ds_write2_b32 v50, v2, v3 offset0:200 offset1:250
	v_pack_b32_f16 v2, v7, v12
	v_pack_b32_f16 v3, v46, v4
	v_add_u32_e32 v4, 0x400, v50
	v_pack_b32_f16 v0, v0, v1
	v_pack_b32_f16 v1, v8, v9
	ds_write2_b32 v4, v2, v3 offset0:44 offset1:94
	ds_write2_b32 v4, v0, v1 offset0:144 offset1:194
	s_waitcnt lgkmcnt(0)
	s_barrier
	ds_read2_b32 v[2:3], v37 offset1:150
	ds_read2_b32 v[0:1], v29 offset0:44 offset1:244
	ds_read2_b32 v[6:7], v30 offset0:104 offset1:254
	v_add_u32_e32 v10, 0xa00, v37
	ds_read2_b32 v[4:5], v10 offset0:10 offset1:160
	ds_read_b32 v11, v37 offset:5200
	s_and_saveexec_b64 s[4:5], s[0:1]
	s_cbranch_execz .LBB0_7
; %bb.6:
	ds_read_b32 v8, v37 offset:1800
	ds_read_b32 v25, v37 offset:3800
	;; [unrolled: 1-line block ×3, first 2 shown]
	s_waitcnt lgkmcnt(2)
	v_lshrrev_b32_e32 v9, 16, v8
	s_waitcnt lgkmcnt(1)
	v_lshrrev_b32_e32 v27, 16, v25
	;; [unrolled: 2-line block ×3, first 2 shown]
.LBB0_7:
	s_or_b64 exec, exec, s[4:5]
	s_waitcnt lgkmcnt(3)
	v_lshrrev_b32_e32 v13, 16, v1
	v_mul_f16_sdwa v46, v19, v13 dst_sel:DWORD dst_unused:UNUSED_PAD src0_sel:WORD_1 src1_sel:DWORD
	s_waitcnt lgkmcnt(2)
	v_lshrrev_b32_e32 v14, 16, v6
	v_fma_f16 v46, v19, v1, v46
	v_mul_f16_sdwa v1, v19, v1 dst_sel:DWORD dst_unused:UNUSED_PAD src0_sel:WORD_1 src1_sel:DWORD
	v_fma_f16 v1, v19, v13, -v1
	v_mul_f16_sdwa v13, v20, v14 dst_sel:DWORD dst_unused:UNUSED_PAD src0_sel:WORD_1 src1_sel:DWORD
	s_waitcnt lgkmcnt(1)
	v_lshrrev_b32_e32 v29, 16, v4
	v_lshrrev_b32_e32 v32, 16, v5
	v_fma_f16 v13, v20, v6, v13
	v_mul_f16_sdwa v6, v20, v6 dst_sel:DWORD dst_unused:UNUSED_PAD src0_sel:WORD_1 src1_sel:DWORD
	v_lshrrev_b32_e32 v30, 16, v7
	v_fma_f16 v6, v20, v14, -v6
	v_mul_f16_sdwa v14, v21, v29 dst_sel:DWORD dst_unused:UNUSED_PAD src0_sel:WORD_1 src1_sel:DWORD
	v_mul_f16_sdwa v20, v23, v32 dst_sel:DWORD dst_unused:UNUSED_PAD src0_sel:WORD_1 src1_sel:DWORD
	s_waitcnt lgkmcnt(0)
	v_lshrrev_b32_e32 v45, 16, v11
	v_fma_f16 v14, v21, v4, v14
	v_mul_f16_sdwa v4, v21, v4 dst_sel:DWORD dst_unused:UNUSED_PAD src0_sel:WORD_1 src1_sel:DWORD
	v_mul_f16_sdwa v19, v22, v30 dst_sel:DWORD dst_unused:UNUSED_PAD src0_sel:WORD_1 src1_sel:DWORD
	v_fma_f16 v20, v23, v5, v20
	v_mul_f16_sdwa v5, v23, v5 dst_sel:DWORD dst_unused:UNUSED_PAD src0_sel:WORD_1 src1_sel:DWORD
	v_fma_f16 v4, v21, v29, -v4
	v_fma_f16 v19, v22, v7, v19
	v_mul_f16_sdwa v7, v22, v7 dst_sel:DWORD dst_unused:UNUSED_PAD src0_sel:WORD_1 src1_sel:DWORD
	v_fma_f16 v5, v23, v32, -v5
	v_mul_f16_sdwa v21, v24, v45 dst_sel:DWORD dst_unused:UNUSED_PAD src0_sel:WORD_1 src1_sel:DWORD
	v_add_f16_e32 v23, v46, v13
	v_lshrrev_b32_e32 v12, 16, v2
	v_fma_f16 v7, v22, v30, -v7
	v_fma_f16 v21, v24, v11, v21
	v_mul_f16_sdwa v11, v24, v11 dst_sel:DWORD dst_unused:UNUSED_PAD src0_sel:WORD_1 src1_sel:DWORD
	v_add_f16_e32 v22, v2, v46
	v_fma_f16 v2, v23, -0.5, v2
	v_sub_f16_e32 v23, v1, v6
	s_mov_b32 s6, 0xbaee
	s_movk_i32 s7, 0x3aee
	v_fma_f16 v11, v24, v45, -v11
	v_fma_f16 v24, v23, s6, v2
	v_fma_f16 v2, v23, s7, v2
	v_add_f16_e32 v23, v12, v1
	v_add_f16_e32 v1, v1, v6
	;; [unrolled: 1-line block ×4, first 2 shown]
	v_fma_f16 v1, v1, -0.5, v12
	v_sub_f16_e32 v6, v46, v13
	v_add_f16_e32 v13, v14, v19
	v_lshrrev_b32_e32 v15, 16, v3
	v_fma_f16 v12, v6, s7, v1
	v_fma_f16 v1, v6, s6, v1
	v_add_f16_e32 v6, v3, v14
	v_fma_f16 v3, v13, -0.5, v3
	v_sub_f16_e32 v13, v4, v7
	v_fma_f16 v29, v13, s6, v3
	v_fma_f16 v3, v13, s7, v3
	v_add_f16_e32 v13, v15, v4
	v_add_f16_e32 v4, v4, v7
	;; [unrolled: 1-line block ×3, first 2 shown]
	v_fma_f16 v4, v4, -0.5, v15
	v_sub_f16_e32 v7, v14, v19
	v_add_f16_e32 v15, v20, v21
	v_lshrrev_b32_e32 v31, 16, v0
	v_fma_f16 v14, v7, s7, v4
	v_fma_f16 v4, v7, s6, v4
	v_add_f16_e32 v7, v0, v20
	v_fma_f16 v0, v15, -0.5, v0
	v_sub_f16_e32 v15, v5, v11
	v_add_f16_e32 v6, v6, v19
	v_fma_f16 v19, v15, s6, v0
	v_fma_f16 v0, v15, s7, v0
	v_add_f16_e32 v15, v31, v5
	v_add_f16_e32 v5, v5, v11
	;; [unrolled: 1-line block ×4, first 2 shown]
	v_fma_f16 v5, v5, -0.5, v31
	v_sub_f16_e32 v11, v20, v21
	v_pack_b32_f16 v1, v2, v1
	v_fma_f16 v20, v11, s7, v5
	v_fma_f16 v5, v11, s6, v5
	v_pack_b32_f16 v11, v22, v23
	v_pack_b32_f16 v12, v24, v12
	ds_write_b32 v37, v1 offset:4000
	v_pack_b32_f16 v1, v6, v13
	v_pack_b32_f16 v2, v3, v4
	;; [unrolled: 1-line block ×3, first 2 shown]
	ds_write_b32 v37, v12 offset:2000
	ds_write2_b32 v37, v11, v1 offset1:150
	v_pack_b32_f16 v1, v29, v14
	ds_write_b32 v37, v3 offset:1200
	v_pack_b32_f16 v3, v19, v20
	ds_write2_b32 v10, v1, v3 offset0:10 offset1:160
	v_pack_b32_f16 v0, v0, v5
	v_add_u32_e32 v1, 0x1100, v37
	ds_write2_b32 v1, v2, v0 offset0:62 offset1:212
	s_and_saveexec_b64 s[4:5], s[0:1]
	s_cbranch_execz .LBB0_9
; %bb.8:
	v_mul_f16_sdwa v0, v17, v25 dst_sel:DWORD dst_unused:UNUSED_PAD src0_sel:WORD_1 src1_sel:DWORD
	v_mul_f16_sdwa v1, v18, v26 dst_sel:DWORD dst_unused:UNUSED_PAD src0_sel:WORD_1 src1_sel:DWORD
	v_fma_f16 v0, v17, v27, -v0
	v_fma_f16 v1, v18, v28, -v1
	v_mul_f16_sdwa v3, v17, v27 dst_sel:DWORD dst_unused:UNUSED_PAD src0_sel:WORD_1 src1_sel:DWORD
	v_mul_f16_sdwa v4, v18, v28 dst_sel:DWORD dst_unused:UNUSED_PAD src0_sel:WORD_1 src1_sel:DWORD
	v_add_f16_e32 v2, v0, v1
	v_fma_f16 v3, v17, v25, v3
	v_fma_f16 v4, v18, v26, v4
	v_fma_f16 v2, v2, -0.5, v9
	v_sub_f16_e32 v5, v3, v4
	v_add_f16_e32 v7, v3, v4
	v_fma_f16 v6, v5, s6, v2
	v_fma_f16 v2, v5, s7, v2
	v_add_f16_e32 v5, v9, v0
	v_fma_f16 v7, v7, -0.5, v8
	v_sub_f16_e32 v0, v0, v1
	v_add_f16_e32 v5, v5, v1
	v_fma_f16 v1, v0, s7, v7
	v_fma_f16 v0, v0, s6, v7
	v_add_f16_e32 v3, v8, v3
	v_add_f16_e32 v3, v3, v4
	v_pack_b32_f16 v0, v0, v2
	v_pack_b32_f16 v3, v3, v5
	ds_write_b32 v37, v0 offset:3800
	v_pack_b32_f16 v0, v1, v6
	ds_write_b32 v37, v3 offset:1800
	ds_write_b32 v37, v0 offset:5800
.LBB0_9:
	s_or_b64 exec, exec, s[4:5]
	s_waitcnt lgkmcnt(0)
	s_barrier
	ds_read2_b32 v[0:1], v37 offset1:150
	s_mov_b32 s4, 0xc3ece2a5
	s_mov_b32 s5, 0x3f45d867
	v_mad_u64_u32 v[4:5], s[0:1], s10, v16, 0
	s_waitcnt lgkmcnt(0)
	v_lshrrev_b32_e32 v7, 16, v0
	v_mul_f16_sdwa v2, v44, v7 dst_sel:DWORD dst_unused:UNUSED_PAD src0_sel:WORD_1 src1_sel:DWORD
	v_fma_f16 v2, v44, v0, v2
	v_cvt_f32_f16_e32 v2, v2
	s_movk_i32 s6, 0x1ff
	v_mad_u64_u32 v[5:6], s[0:1], s11, v16, v[5:6]
	v_cvt_f64_f32_e32 v[2:3], v2
	s_movk_i32 s7, 0xffe
	v_mul_f16_sdwa v0, v44, v0 dst_sel:DWORD dst_unused:UNUSED_PAD src0_sel:WORD_1 src1_sel:DWORD
	v_fma_f16 v0, v44, v7, -v0
	v_mul_f64 v[2:3], v[2:3], s[4:5]
	v_cvt_f32_f16_e32 v7, v0
	v_mov_b32_e32 v0, 0x7c00
	s_movk_i32 s10, 0x40f
	s_mov_b32 s11, 0x8000
	v_lshlrev_b64 v[4:5], 2, v[4:5]
	v_and_or_b32 v2, v3, s6, v2
	v_cmp_ne_u32_e32 vcc, 0, v2
	v_lshrrev_b32_e32 v6, 8, v3
	v_bfe_u32 v8, v3, 20, 11
	v_cndmask_b32_e64 v2, 0, 1, vcc
	v_sub_u32_e32 v9, 0x3f1, v8
	v_and_or_b32 v2, v6, s7, v2
	v_or_b32_e32 v6, 0x1000, v2
	v_med3_i32 v9, v9, 0, 13
	v_lshrrev_b32_e32 v10, v9, v6
	v_lshlrev_b32_e32 v9, v9, v10
	v_cmp_ne_u32_e32 vcc, v9, v6
	v_cndmask_b32_e64 v6, 0, 1, vcc
	v_add_u32_e32 v8, 0xfffffc10, v8
	v_or_b32_e32 v6, v10, v6
	v_lshl_or_b32 v9, v8, 12, v2
	v_cmp_gt_i32_e32 vcc, 1, v8
	v_cndmask_b32_e32 v6, v9, v6, vcc
	v_and_b32_e32 v9, 7, v6
	v_cmp_lt_i32_e32 vcc, 5, v9
	v_cmp_eq_u32_e64 s[0:1], 3, v9
	v_lshrrev_b32_e32 v6, 2, v6
	s_or_b64 vcc, s[0:1], vcc
	v_addc_co_u32_e32 v9, vcc, 0, v6, vcc
	v_cvt_f64_f32_e32 v[6:7], v7
	v_cmp_gt_i32_e32 vcc, 31, v8
	v_cndmask_b32_e32 v9, v0, v9, vcc
	v_cmp_ne_u32_e32 vcc, 0, v2
	v_mul_f64 v[6:7], v[6:7], s[4:5]
	v_cndmask_b32_e64 v2, 0, 1, vcc
	v_lshl_or_b32 v2, v2, 9, v0
	v_cmp_eq_u32_e32 vcc, s10, v8
	v_cndmask_b32_e32 v2, v9, v2, vcc
	v_lshrrev_b32_e32 v3, 16, v3
	v_and_or_b32 v10, v3, s11, v2
	v_and_b32_e32 v10, 0xffff, v10
	v_and_or_b32 v2, v7, s6, v6
	v_cmp_ne_u32_e32 vcc, 0, v2
	v_cndmask_b32_e64 v2, 0, 1, vcc
	v_lshrrev_b32_e32 v3, 8, v7
	v_bfe_u32 v6, v7, 20, 11
	v_and_or_b32 v2, v3, s7, v2
	v_sub_u32_e32 v8, 0x3f1, v6
	v_or_b32_e32 v3, 0x1000, v2
	v_med3_i32 v8, v8, 0, 13
	v_lshrrev_b32_e32 v9, v8, v3
	v_lshlrev_b32_e32 v8, v8, v9
	v_cmp_ne_u32_e32 vcc, v8, v3
	v_cndmask_b32_e64 v3, 0, 1, vcc
	v_add_u32_e32 v6, 0xfffffc10, v6
	v_or_b32_e32 v3, v9, v3
	v_lshl_or_b32 v8, v6, 12, v2
	v_cmp_gt_i32_e32 vcc, 1, v6
	v_cndmask_b32_e32 v3, v8, v3, vcc
	v_and_b32_e32 v8, 7, v3
	v_cmp_lt_i32_e32 vcc, 5, v8
	v_cmp_eq_u32_e64 s[0:1], 3, v8
	v_lshrrev_b32_e32 v3, 2, v3
	s_or_b64 vcc, s[0:1], vcc
	v_addc_co_u32_e32 v3, vcc, 0, v3, vcc
	v_cmp_gt_i32_e32 vcc, 31, v6
	v_cndmask_b32_e32 v3, v0, v3, vcc
	v_cmp_ne_u32_e32 vcc, 0, v2
	v_cndmask_b32_e64 v2, 0, 1, vcc
	v_lshl_or_b32 v2, v2, 9, v0
	v_cmp_eq_u32_e32 vcc, s10, v6
	v_cndmask_b32_e32 v11, v3, v2, vcc
	v_add_u32_e32 v2, 0x400, v37
	v_mad_u64_u32 v[8:9], s[0:1], s8, v42, 0
	ds_read2_b32 v[2:3], v2 offset0:44 offset1:194
	v_lshrrev_b32_e32 v12, 16, v7
	v_mov_b32_e32 v6, v9
	v_mad_u64_u32 v[6:7], s[0:1], s9, v42, v[6:7]
	s_waitcnt lgkmcnt(0)
	v_lshrrev_b32_e32 v13, 16, v2
	v_mul_f16_sdwa v7, v43, v13 dst_sel:DWORD dst_unused:UNUSED_PAD src0_sel:WORD_1 src1_sel:DWORD
	v_fma_f16 v7, v43, v2, v7
	v_cvt_f32_f16_e32 v7, v7
	v_mov_b32_e32 v9, v6
	v_and_or_b32 v11, v12, s11, v11
	v_lshl_or_b32 v10, v11, 16, v10
	v_cvt_f64_f32_e32 v[6:7], v7
	v_mov_b32_e32 v11, s3
	v_add_co_u32_e32 v12, vcc, s2, v4
	v_mul_f64 v[6:7], v[6:7], s[4:5]
	v_addc_co_u32_e32 v11, vcc, v11, v5, vcc
	v_lshlrev_b64 v[4:5], 2, v[8:9]
	v_mul_f16_sdwa v2, v43, v2 dst_sel:DWORD dst_unused:UNUSED_PAD src0_sel:WORD_1 src1_sel:DWORD
	v_add_co_u32_e32 v8, vcc, v12, v4
	v_addc_co_u32_e32 v9, vcc, v11, v5, vcc
	v_and_or_b32 v4, v7, s6, v6
	v_cmp_ne_u32_e32 vcc, 0, v4
	v_cndmask_b32_e64 v4, 0, 1, vcc
	v_lshrrev_b32_e32 v5, 8, v7
	global_store_dword v[8:9], v10, off
	v_and_or_b32 v10, v5, s7, v4
	v_bfe_u32 v5, v7, 20, 11
	v_sub_u32_e32 v6, 0x3f1, v5
	v_or_b32_e32 v4, 0x1000, v10
	v_med3_i32 v6, v6, 0, 13
	v_lshrrev_b32_e32 v11, v6, v4
	v_lshlrev_b32_e32 v6, v6, v11
	v_cmp_ne_u32_e32 vcc, v6, v4
	v_cndmask_b32_e64 v4, 0, 1, vcc
	v_fma_f16 v2, v43, v13, -v2
	v_or_b32_e32 v4, v11, v4
	v_add_u32_e32 v11, 0xfffffc10, v5
	v_cvt_f32_f16_e32 v2, v2
	v_lshl_or_b32 v5, v11, 12, v10
	v_cmp_gt_i32_e32 vcc, 1, v11
	v_cndmask_b32_e32 v4, v5, v4, vcc
	v_and_b32_e32 v5, 7, v4
	v_cmp_lt_i32_e32 vcc, 5, v5
	v_cmp_eq_u32_e64 s[0:1], 3, v5
	v_lshrrev_b32_e32 v6, 2, v4
	v_cvt_f64_f32_e32 v[4:5], v2
	s_or_b64 vcc, s[0:1], vcc
	v_addc_co_u32_e32 v2, vcc, 0, v6, vcc
	v_mul_f64 v[5:6], v[4:5], s[4:5]
	v_cmp_gt_i32_e32 vcc, 31, v11
	v_cndmask_b32_e32 v2, v0, v2, vcc
	v_cmp_ne_u32_e32 vcc, 0, v10
	v_cndmask_b32_e64 v4, 0, 1, vcc
	v_lshl_or_b32 v4, v4, 9, v0
	v_cmp_eq_u32_e32 vcc, s10, v11
	v_cndmask_b32_e32 v2, v2, v4, vcc
	v_lshrrev_b32_e32 v4, 16, v7
	v_and_or_b32 v2, v4, s11, v2
	v_and_or_b32 v4, v6, s6, v5
	v_cmp_ne_u32_e32 vcc, 0, v4
	v_cndmask_b32_e64 v4, 0, 1, vcc
	v_lshrrev_b32_e32 v5, 8, v6
	v_bfe_u32 v7, v6, 20, 11
	v_and_or_b32 v4, v5, s7, v4
	v_sub_u32_e32 v10, 0x3f1, v7
	v_or_b32_e32 v5, 0x1000, v4
	v_med3_i32 v10, v10, 0, 13
	v_lshrrev_b32_e32 v11, v10, v5
	v_lshlrev_b32_e32 v10, v10, v11
	v_cmp_ne_u32_e32 vcc, v10, v5
	v_cndmask_b32_e64 v5, 0, 1, vcc
	v_add_u32_e32 v7, 0xfffffc10, v7
	v_or_b32_e32 v5, v11, v5
	v_lshl_or_b32 v10, v7, 12, v4
	v_cmp_gt_i32_e32 vcc, 1, v7
	v_cndmask_b32_e32 v5, v10, v5, vcc
	v_and_b32_e32 v10, 7, v5
	v_cmp_lt_i32_e32 vcc, 5, v10
	v_cmp_eq_u32_e64 s[0:1], 3, v10
	v_lshrrev_b32_e32 v5, 2, v5
	s_or_b64 vcc, s[0:1], vcc
	v_addc_co_u32_e32 v5, vcc, 0, v5, vcc
	v_cmp_gt_i32_e32 vcc, 31, v7
	v_cndmask_b32_e32 v10, v0, v5, vcc
	v_cmp_ne_u32_e32 vcc, 0, v4
	v_add_u32_e32 v4, 0x800, v37
	ds_read2_b32 v[4:5], v4 offset0:88 offset1:238
	v_cndmask_b32_e64 v11, 0, 1, vcc
	v_lshl_or_b32 v11, v11, 9, v0
	v_cmp_eq_u32_e32 vcc, s10, v7
	v_cndmask_b32_e32 v7, v10, v11, vcc
	s_waitcnt lgkmcnt(0)
	v_lshrrev_b32_e32 v10, 16, v4
	v_mul_f16_sdwa v11, v41, v10 dst_sel:DWORD dst_unused:UNUSED_PAD src0_sel:WORD_1 src1_sel:DWORD
	v_fma_f16 v11, v41, v4, v11
	v_cvt_f32_f16_e32 v11, v11
	v_lshrrev_b32_e32 v6, 16, v6
	v_and_or_b32 v6, v6, s11, v7
	v_and_b32_e32 v2, 0xffff, v2
	v_lshl_or_b32 v2, v6, 16, v2
	v_cvt_f64_f32_e32 v[6:7], v11
	s_mul_i32 s0, s9, 0x4b0
	s_mul_hi_u32 s2, s8, 0x4b0
	s_add_i32 s2, s2, s0
	v_mul_f64 v[6:7], v[6:7], s[4:5]
	s_mul_i32 s3, s8, 0x4b0
	v_mov_b32_e32 v11, s2
	v_add_co_u32_e32 v8, vcc, s3, v8
	v_addc_co_u32_e32 v9, vcc, v9, v11, vcc
	global_store_dword v[8:9], v2, off
	v_and_or_b32 v2, v7, s6, v6
	v_cmp_ne_u32_e32 vcc, 0, v2
	v_cndmask_b32_e64 v2, 0, 1, vcc
	v_lshrrev_b32_e32 v6, 8, v7
	v_bfe_u32 v11, v7, 20, 11
	v_and_or_b32 v2, v6, s7, v2
	v_sub_u32_e32 v12, 0x3f1, v11
	v_or_b32_e32 v6, 0x1000, v2
	v_med3_i32 v12, v12, 0, 13
	v_lshrrev_b32_e32 v13, v12, v6
	v_lshlrev_b32_e32 v12, v12, v13
	v_mul_f16_sdwa v4, v41, v4 dst_sel:DWORD dst_unused:UNUSED_PAD src0_sel:WORD_1 src1_sel:DWORD
	v_cmp_ne_u32_e32 vcc, v12, v6
	v_fma_f16 v4, v41, v10, -v4
	v_cndmask_b32_e64 v6, 0, 1, vcc
	v_add_u32_e32 v12, 0xfffffc10, v11
	v_cvt_f32_f16_e32 v4, v4
	v_or_b32_e32 v6, v13, v6
	v_lshl_or_b32 v11, v12, 12, v2
	v_cmp_gt_i32_e32 vcc, 1, v12
	v_cndmask_b32_e32 v6, v11, v6, vcc
	v_and_b32_e32 v11, 7, v6
	v_cmp_lt_i32_e32 vcc, 5, v11
	v_cmp_eq_u32_e64 s[0:1], 3, v11
	v_cvt_f64_f32_e32 v[10:11], v4
	v_lshrrev_b32_e32 v6, 2, v6
	s_or_b64 vcc, s[0:1], vcc
	v_addc_co_u32_e32 v4, vcc, 0, v6, vcc
	v_mul_f64 v[10:11], v[10:11], s[4:5]
	v_cmp_gt_i32_e32 vcc, 31, v12
	v_cndmask_b32_e32 v4, v0, v4, vcc
	v_cmp_ne_u32_e32 vcc, 0, v2
	v_cndmask_b32_e64 v2, 0, 1, vcc
	v_lshl_or_b32 v2, v2, 9, v0
	v_cmp_eq_u32_e32 vcc, s10, v12
	v_cndmask_b32_e32 v2, v4, v2, vcc
	v_lshrrev_b32_e32 v4, 16, v7
	v_and_or_b32 v2, v4, s11, v2
	v_and_or_b32 v4, v11, s6, v10
	v_cmp_ne_u32_e32 vcc, 0, v4
	v_cndmask_b32_e64 v4, 0, 1, vcc
	v_lshrrev_b32_e32 v6, 8, v11
	v_bfe_u32 v7, v11, 20, 11
	v_and_or_b32 v4, v6, s7, v4
	v_sub_u32_e32 v10, 0x3f1, v7
	v_or_b32_e32 v6, 0x1000, v4
	v_med3_i32 v10, v10, 0, 13
	v_lshrrev_b32_e32 v12, v10, v6
	v_lshlrev_b32_e32 v10, v10, v12
	v_cmp_ne_u32_e32 vcc, v10, v6
	v_cndmask_b32_e64 v6, 0, 1, vcc
	v_add_u32_e32 v10, 0xfffffc10, v7
	v_or_b32_e32 v6, v12, v6
	v_lshl_or_b32 v7, v10, 12, v4
	v_cmp_gt_i32_e32 vcc, 1, v10
	v_cndmask_b32_e32 v6, v7, v6, vcc
	v_and_b32_e32 v7, 7, v6
	v_cmp_lt_i32_e32 vcc, 5, v7
	v_cmp_eq_u32_e64 s[0:1], 3, v7
	v_lshrrev_b32_e32 v6, 2, v6
	s_or_b64 vcc, s[0:1], vcc
	v_addc_co_u32_e32 v12, vcc, 0, v6, vcc
	v_add_u32_e32 v6, 0xe00, v37
	ds_read2_b32 v[6:7], v6 offset0:4 offset1:154
	v_cmp_gt_i32_e32 vcc, 31, v10
	v_cndmask_b32_e32 v12, v0, v12, vcc
	v_cmp_ne_u32_e32 vcc, 0, v4
	v_cndmask_b32_e64 v4, 0, 1, vcc
	s_waitcnt lgkmcnt(0)
	v_lshrrev_b32_e32 v14, 16, v6
	v_mul_f16_sdwa v13, v40, v14 dst_sel:DWORD dst_unused:UNUSED_PAD src0_sel:WORD_1 src1_sel:DWORD
	v_fma_f16 v13, v40, v6, v13
	v_cvt_f32_f16_e32 v13, v13
	v_lshl_or_b32 v4, v4, 9, v0
	v_cmp_eq_u32_e32 vcc, s10, v10
	v_cndmask_b32_e32 v4, v12, v4, vcc
	v_cvt_f64_f32_e32 v[12:13], v13
	v_lshrrev_b32_e32 v10, 16, v11
	v_and_or_b32 v4, v10, s11, v4
	v_and_b32_e32 v2, 0xffff, v2
	v_mul_f64 v[10:11], v[12:13], s[4:5]
	v_lshl_or_b32 v2, v4, 16, v2
	v_mov_b32_e32 v4, s2
	v_add_co_u32_e32 v12, vcc, s3, v8
	v_addc_co_u32_e32 v13, vcc, v9, v4, vcc
	global_store_dword v[12:13], v2, off
	v_and_or_b32 v2, v11, s6, v10
	v_cmp_ne_u32_e32 vcc, 0, v2
	v_cndmask_b32_e64 v2, 0, 1, vcc
	v_lshrrev_b32_e32 v4, 8, v11
	v_bfe_u32 v8, v11, 20, 11
	v_and_or_b32 v2, v4, s7, v2
	v_sub_u32_e32 v9, 0x3f1, v8
	v_or_b32_e32 v4, 0x1000, v2
	v_med3_i32 v9, v9, 0, 13
	v_lshrrev_b32_e32 v10, v9, v4
	v_lshlrev_b32_e32 v9, v9, v10
	v_mul_f16_sdwa v6, v40, v6 dst_sel:DWORD dst_unused:UNUSED_PAD src0_sel:WORD_1 src1_sel:DWORD
	v_cmp_ne_u32_e32 vcc, v9, v4
	v_fma_f16 v6, v40, v14, -v6
	v_cndmask_b32_e64 v4, 0, 1, vcc
	v_add_u32_e32 v15, 0xfffffc10, v8
	v_cvt_f32_f16_e32 v6, v6
	v_or_b32_e32 v4, v10, v4
	v_lshl_or_b32 v8, v15, 12, v2
	v_cmp_gt_i32_e32 vcc, 1, v15
	v_cndmask_b32_e32 v4, v8, v4, vcc
	v_and_b32_e32 v8, 7, v4
	v_cmp_lt_i32_e32 vcc, 5, v8
	v_cmp_eq_u32_e64 s[0:1], 3, v8
	v_cvt_f64_f32_e32 v[8:9], v6
	v_lshrrev_b32_e32 v4, 2, v4
	s_or_b64 vcc, s[0:1], vcc
	v_addc_co_u32_e32 v4, vcc, 0, v4, vcc
	v_mul_f64 v[9:10], v[8:9], s[4:5]
	v_cmp_gt_i32_e32 vcc, 31, v15
	v_cndmask_b32_e32 v4, v0, v4, vcc
	v_cmp_ne_u32_e32 vcc, 0, v2
	v_cndmask_b32_e64 v2, 0, 1, vcc
	v_lshl_or_b32 v2, v2, 9, v0
	v_cmp_eq_u32_e32 vcc, s10, v15
	v_cndmask_b32_e32 v2, v4, v2, vcc
	v_lshrrev_b32_e32 v4, 16, v11
	v_and_or_b32 v2, v4, s11, v2
	v_and_or_b32 v4, v10, s6, v9
	v_cmp_ne_u32_e32 vcc, 0, v4
	v_cndmask_b32_e64 v4, 0, 1, vcc
	v_lshrrev_b32_e32 v6, 8, v10
	v_bfe_u32 v8, v10, 20, 11
	v_and_or_b32 v4, v6, s7, v4
	v_sub_u32_e32 v9, 0x3f1, v8
	v_or_b32_e32 v6, 0x1000, v4
	v_med3_i32 v9, v9, 0, 13
	v_lshrrev_b32_e32 v11, v9, v6
	v_lshlrev_b32_e32 v9, v9, v11
	v_cmp_ne_u32_e32 vcc, v9, v6
	v_cndmask_b32_e64 v6, 0, 1, vcc
	v_or_b32_e32 v6, v11, v6
	v_add_u32_e32 v11, 0xfffffc10, v8
	v_lshl_or_b32 v8, v11, 12, v4
	v_cmp_gt_i32_e32 vcc, 1, v11
	v_cndmask_b32_e32 v6, v8, v6, vcc
	v_and_b32_e32 v8, 7, v6
	v_cmp_lt_i32_e32 vcc, 5, v8
	v_cmp_eq_u32_e64 s[0:1], 3, v8
	v_add_u32_e32 v8, 0x1200, v37
	ds_read2_b32 v[8:9], v8 offset0:48 offset1:198
	v_lshrrev_b32_e32 v6, 2, v6
	s_or_b64 vcc, s[0:1], vcc
	v_addc_co_u32_e32 v6, vcc, 0, v6, vcc
	s_waitcnt lgkmcnt(0)
	v_lshrrev_b32_e32 v16, 16, v8
	v_mul_f16_sdwa v14, v39, v16 dst_sel:DWORD dst_unused:UNUSED_PAD src0_sel:WORD_1 src1_sel:DWORD
	v_fma_f16 v14, v39, v8, v14
	v_cvt_f32_f16_e32 v14, v14
	v_cmp_gt_i32_e32 vcc, 31, v11
	v_cndmask_b32_e32 v6, v0, v6, vcc
	v_cmp_ne_u32_e32 vcc, 0, v4
	v_cvt_f64_f32_e32 v[14:15], v14
	v_cndmask_b32_e64 v4, 0, 1, vcc
	v_lshl_or_b32 v4, v4, 9, v0
	v_cmp_eq_u32_e32 vcc, s10, v11
	v_cndmask_b32_e32 v4, v6, v4, vcc
	v_lshrrev_b32_e32 v6, 16, v10
	v_mul_f64 v[10:11], v[14:15], s[4:5]
	v_and_or_b32 v4, v6, s11, v4
	v_and_b32_e32 v2, 0xffff, v2
	v_lshl_or_b32 v2, v4, 16, v2
	v_mov_b32_e32 v4, s2
	v_add_co_u32_e32 v12, vcc, s3, v12
	v_addc_co_u32_e32 v13, vcc, v13, v4, vcc
	global_store_dword v[12:13], v2, off
	v_and_or_b32 v2, v11, s6, v10
	v_cmp_ne_u32_e32 vcc, 0, v2
	v_cndmask_b32_e64 v2, 0, 1, vcc
	v_lshrrev_b32_e32 v4, 8, v11
	v_bfe_u32 v6, v11, 20, 11
	v_and_or_b32 v2, v4, s7, v2
	v_sub_u32_e32 v10, 0x3f1, v6
	v_mul_f16_sdwa v8, v39, v8 dst_sel:DWORD dst_unused:UNUSED_PAD src0_sel:WORD_1 src1_sel:DWORD
	v_or_b32_e32 v4, 0x1000, v2
	v_med3_i32 v10, v10, 0, 13
	v_fma_f16 v8, v39, v16, -v8
	v_lshrrev_b32_e32 v14, v10, v4
	v_cvt_f32_f16_e32 v8, v8
	v_lshlrev_b32_e32 v10, v10, v14
	v_cmp_ne_u32_e32 vcc, v10, v4
	v_cndmask_b32_e64 v4, 0, 1, vcc
	v_or_b32_e32 v4, v14, v4
	v_add_u32_e32 v6, 0xfffffc10, v6
	v_cvt_f64_f32_e32 v[14:15], v8
	v_lshl_or_b32 v10, v6, 12, v2
	v_cmp_gt_i32_e32 vcc, 1, v6
	v_cndmask_b32_e32 v4, v10, v4, vcc
	v_and_b32_e32 v10, 7, v4
	v_cmp_lt_i32_e32 vcc, 5, v10
	v_cmp_eq_u32_e64 s[0:1], 3, v10
	v_mul_f64 v[14:15], v[14:15], s[4:5]
	v_lshrrev_b32_e32 v4, 2, v4
	s_or_b64 vcc, s[0:1], vcc
	v_addc_co_u32_e32 v4, vcc, 0, v4, vcc
	v_cmp_gt_i32_e32 vcc, 31, v6
	v_cndmask_b32_e32 v4, v0, v4, vcc
	v_cmp_ne_u32_e32 vcc, 0, v2
	v_cndmask_b32_e64 v2, 0, 1, vcc
	v_lshl_or_b32 v2, v2, 9, v0
	v_cmp_eq_u32_e32 vcc, s10, v6
	v_cndmask_b32_e32 v2, v4, v2, vcc
	v_lshrrev_b32_e32 v4, 16, v11
	v_and_or_b32 v2, v4, s11, v2
	v_and_or_b32 v4, v15, s6, v14
	v_cmp_ne_u32_e32 vcc, 0, v4
	v_cndmask_b32_e64 v4, 0, 1, vcc
	v_lshrrev_b32_e32 v6, 8, v15
	v_bfe_u32 v8, v15, 20, 11
	v_and_or_b32 v4, v6, s7, v4
	v_sub_u32_e32 v10, 0x3f1, v8
	v_or_b32_e32 v6, 0x1000, v4
	v_med3_i32 v10, v10, 0, 13
	v_lshrrev_b32_e32 v11, v10, v6
	v_lshlrev_b32_e32 v10, v10, v11
	v_cmp_ne_u32_e32 vcc, v10, v6
	v_cndmask_b32_e64 v6, 0, 1, vcc
	v_add_u32_e32 v8, 0xfffffc10, v8
	v_or_b32_e32 v6, v11, v6
	v_lshl_or_b32 v10, v8, 12, v4
	v_cmp_gt_i32_e32 vcc, 1, v8
	v_cndmask_b32_e32 v6, v10, v6, vcc
	v_and_b32_e32 v10, 7, v6
	v_lshrrev_b32_e32 v14, 16, v1
	v_cmp_lt_i32_e32 vcc, 5, v10
	v_cmp_eq_u32_e64 s[0:1], 3, v10
	v_mul_f16_sdwa v10, v38, v14 dst_sel:DWORD dst_unused:UNUSED_PAD src0_sel:WORD_1 src1_sel:DWORD
	v_fma_f16 v10, v38, v1, v10
	v_cvt_f32_f16_e32 v10, v10
	v_lshrrev_b32_e32 v6, 2, v6
	s_or_b64 vcc, s[0:1], vcc
	v_addc_co_u32_e32 v6, vcc, 0, v6, vcc
	v_cvt_f64_f32_e32 v[10:11], v10
	v_cmp_gt_i32_e32 vcc, 31, v8
	v_cndmask_b32_e32 v6, v0, v6, vcc
	v_cmp_ne_u32_e32 vcc, 0, v4
	v_mul_f64 v[10:11], v[10:11], s[4:5]
	v_cndmask_b32_e64 v4, 0, 1, vcc
	v_lshl_or_b32 v4, v4, 9, v0
	v_cmp_eq_u32_e32 vcc, s10, v8
	v_cndmask_b32_e32 v4, v6, v4, vcc
	v_lshrrev_b32_e32 v6, 16, v15
	v_and_or_b32 v4, v6, s11, v4
	v_and_b32_e32 v2, 0xffff, v2
	v_lshl_or_b32 v2, v4, 16, v2
	v_mov_b32_e32 v4, s2
	v_add_co_u32_e32 v12, vcc, s3, v12
	v_addc_co_u32_e32 v13, vcc, v13, v4, vcc
	global_store_dword v[12:13], v2, off
	v_and_or_b32 v2, v11, s6, v10
	v_cmp_ne_u32_e32 vcc, 0, v2
	v_cndmask_b32_e64 v2, 0, 1, vcc
	v_lshrrev_b32_e32 v4, 8, v11
	v_bfe_u32 v6, v11, 20, 11
	v_and_or_b32 v4, v4, s7, v2
	v_sub_u32_e32 v8, 0x3f1, v6
	v_or_b32_e32 v2, 0x1000, v4
	v_med3_i32 v8, v8, 0, 13
	v_lshrrev_b32_e32 v10, v8, v2
	v_lshlrev_b32_e32 v8, v8, v10
	v_mul_f16_sdwa v1, v38, v1 dst_sel:DWORD dst_unused:UNUSED_PAD src0_sel:WORD_1 src1_sel:DWORD
	v_cmp_ne_u32_e32 vcc, v8, v2
	v_fma_f16 v1, v38, v14, -v1
	v_cndmask_b32_e64 v2, 0, 1, vcc
	v_add_u32_e32 v6, 0xfffffc10, v6
	v_cvt_f32_f16_e32 v1, v1
	v_or_b32_e32 v2, v10, v2
	v_lshl_or_b32 v8, v6, 12, v4
	v_cmp_gt_i32_e32 vcc, 1, v6
	v_cndmask_b32_e32 v2, v8, v2, vcc
	v_and_b32_e32 v8, 7, v2
	v_cmp_lt_i32_e32 vcc, 5, v8
	v_cmp_eq_u32_e64 s[0:1], 3, v8
	v_lshrrev_b32_e32 v8, 2, v2
	v_cvt_f64_f32_e32 v[1:2], v1
	s_or_b64 vcc, s[0:1], vcc
	v_addc_co_u32_e32 v8, vcc, 0, v8, vcc
	v_mul_f64 v[1:2], v[1:2], s[4:5]
	v_cmp_gt_i32_e32 vcc, 31, v6
	v_cndmask_b32_e32 v8, v0, v8, vcc
	v_cmp_ne_u32_e32 vcc, 0, v4
	v_cndmask_b32_e64 v4, 0, 1, vcc
	v_lshl_or_b32 v4, v4, 9, v0
	v_cmp_eq_u32_e32 vcc, s10, v6
	v_cndmask_b32_e32 v4, v8, v4, vcc
	v_and_or_b32 v1, v2, s6, v1
	v_lshrrev_b32_e32 v6, 16, v11
	v_cmp_ne_u32_e32 vcc, 0, v1
	v_and_or_b32 v4, v6, s11, v4
	v_cndmask_b32_e64 v1, 0, 1, vcc
	v_lshrrev_b32_e32 v6, 8, v2
	v_bfe_u32 v8, v2, 20, 11
	v_and_or_b32 v1, v6, s7, v1
	v_sub_u32_e32 v10, 0x3f1, v8
	v_or_b32_e32 v6, 0x1000, v1
	v_med3_i32 v10, v10, 0, 13
	v_lshrrev_b32_e32 v11, v10, v6
	v_lshlrev_b32_e32 v10, v10, v11
	v_cmp_ne_u32_e32 vcc, v10, v6
	v_cndmask_b32_e64 v6, 0, 1, vcc
	v_add_u32_e32 v8, 0xfffffc10, v8
	v_or_b32_e32 v6, v11, v6
	v_lshl_or_b32 v10, v8, 12, v1
	v_cmp_gt_i32_e32 vcc, 1, v8
	v_cndmask_b32_e32 v6, v10, v6, vcc
	v_and_b32_e32 v10, 7, v6
	v_cmp_lt_i32_e32 vcc, 5, v10
	v_cmp_eq_u32_e64 s[0:1], 3, v10
	v_lshrrev_b32_e32 v14, 16, v3
	v_lshrrev_b32_e32 v6, 2, v6
	s_or_b64 vcc, s[0:1], vcc
	v_mul_f16_sdwa v10, v36, v14 dst_sel:DWORD dst_unused:UNUSED_PAD src0_sel:WORD_1 src1_sel:DWORD
	v_addc_co_u32_e32 v6, vcc, 0, v6, vcc
	v_fma_f16 v10, v36, v3, v10
	v_cmp_gt_i32_e32 vcc, 31, v8
	v_cvt_f32_f16_e32 v10, v10
	v_cndmask_b32_e32 v6, v0, v6, vcc
	v_cmp_ne_u32_e32 vcc, 0, v1
	v_cndmask_b32_e64 v1, 0, 1, vcc
	v_lshl_or_b32 v1, v1, 9, v0
	v_cmp_eq_u32_e32 vcc, s10, v8
	v_cndmask_b32_e32 v6, v6, v1, vcc
	v_lshrrev_b32_e32 v8, 16, v2
	v_cvt_f64_f32_e32 v[1:2], v10
	v_and_or_b32 v6, v8, s11, v6
	v_mov_b32_e32 v8, 0xffffef98
	v_mad_u64_u32 v[10:11], s[0:1], s8, v8, v[12:13]
	v_mul_f64 v[1:2], v[1:2], s[4:5]
	s_mul_i32 s0, s9, 0xffffef98
	v_and_b32_e32 v4, 0xffff, v4
	s_sub_i32 s0, s0, s8
	v_lshl_or_b32 v4, v6, 16, v4
	v_add_u32_e32 v11, s0, v11
	global_store_dword v[10:11], v4, off
	v_mul_f16_sdwa v3, v36, v3 dst_sel:DWORD dst_unused:UNUSED_PAD src0_sel:WORD_1 src1_sel:DWORD
	v_and_or_b32 v1, v2, s6, v1
	v_cmp_ne_u32_e32 vcc, 0, v1
	v_cndmask_b32_e64 v1, 0, 1, vcc
	v_lshrrev_b32_e32 v4, 8, v2
	v_bfe_u32 v6, v2, 20, 11
	v_and_or_b32 v1, v4, s7, v1
	v_sub_u32_e32 v8, 0x3f1, v6
	v_or_b32_e32 v4, 0x1000, v1
	v_med3_i32 v8, v8, 0, 13
	v_lshrrev_b32_e32 v12, v8, v4
	v_lshlrev_b32_e32 v8, v8, v12
	v_cmp_ne_u32_e32 vcc, v8, v4
	v_fma_f16 v3, v36, v14, -v3
	v_cndmask_b32_e64 v4, 0, 1, vcc
	v_add_u32_e32 v6, 0xfffffc10, v6
	v_cvt_f32_f16_e32 v3, v3
	v_or_b32_e32 v4, v12, v4
	v_lshl_or_b32 v8, v6, 12, v1
	v_cmp_gt_i32_e32 vcc, 1, v6
	v_cndmask_b32_e32 v4, v8, v4, vcc
	v_and_b32_e32 v8, 7, v4
	v_cmp_lt_i32_e32 vcc, 5, v8
	v_cmp_eq_u32_e64 s[0:1], 3, v8
	v_lshrrev_b32_e32 v8, 2, v4
	v_cvt_f64_f32_e32 v[3:4], v3
	s_or_b64 vcc, s[0:1], vcc
	v_addc_co_u32_e32 v8, vcc, 0, v8, vcc
	v_mul_f64 v[3:4], v[3:4], s[4:5]
	v_cmp_gt_i32_e32 vcc, 31, v6
	v_cndmask_b32_e32 v8, v0, v8, vcc
	v_cmp_ne_u32_e32 vcc, 0, v1
	v_cndmask_b32_e64 v1, 0, 1, vcc
	v_lshl_or_b32 v1, v1, 9, v0
	v_cmp_eq_u32_e32 vcc, s10, v6
	v_cndmask_b32_e32 v1, v8, v1, vcc
	v_lshrrev_b32_e32 v2, 16, v2
	v_and_or_b32 v6, v2, s11, v1
	v_and_or_b32 v1, v4, s6, v3
	v_cmp_ne_u32_e32 vcc, 0, v1
	v_cndmask_b32_e64 v1, 0, 1, vcc
	v_lshrrev_b32_e32 v2, 8, v4
	v_bfe_u32 v3, v4, 20, 11
	v_and_or_b32 v1, v2, s7, v1
	v_sub_u32_e32 v8, 0x3f1, v3
	v_or_b32_e32 v2, 0x1000, v1
	v_med3_i32 v8, v8, 0, 13
	v_lshrrev_b32_e32 v12, v8, v2
	v_lshlrev_b32_e32 v8, v8, v12
	v_cmp_ne_u32_e32 vcc, v8, v2
	v_cndmask_b32_e64 v2, 0, 1, vcc
	v_add_u32_e32 v3, 0xfffffc10, v3
	v_or_b32_e32 v2, v12, v2
	v_lshl_or_b32 v8, v3, 12, v1
	v_cmp_gt_i32_e32 vcc, 1, v3
	v_cndmask_b32_e32 v2, v8, v2, vcc
	v_and_b32_e32 v8, 7, v2
	v_cmp_lt_i32_e32 vcc, 5, v8
	v_cmp_eq_u32_e64 s[0:1], 3, v8
	v_lshrrev_b32_e32 v8, 16, v5
	v_lshrrev_b32_e32 v2, 2, v2
	s_or_b64 vcc, s[0:1], vcc
	v_mul_f16_sdwa v12, v35, v8 dst_sel:DWORD dst_unused:UNUSED_PAD src0_sel:WORD_1 src1_sel:DWORD
	v_addc_co_u32_e32 v2, vcc, 0, v2, vcc
	v_fma_f16 v12, v35, v5, v12
	v_cmp_gt_i32_e32 vcc, 31, v3
	v_cvt_f32_f16_e32 v12, v12
	v_cndmask_b32_e32 v2, v0, v2, vcc
	v_cmp_ne_u32_e32 vcc, 0, v1
	v_cndmask_b32_e64 v1, 0, 1, vcc
	v_lshl_or_b32 v1, v1, 9, v0
	v_cmp_eq_u32_e32 vcc, s10, v3
	v_cndmask_b32_e32 v3, v2, v1, vcc
	v_cvt_f64_f32_e32 v[1:2], v12
	v_lshrrev_b32_e32 v4, 16, v4
	v_and_or_b32 v3, v4, s11, v3
	v_and_b32_e32 v4, 0xffff, v6
	v_mul_f64 v[1:2], v[1:2], s[4:5]
	v_lshl_or_b32 v6, v3, 16, v4
	v_mov_b32_e32 v4, s2
	v_add_co_u32_e32 v3, vcc, s3, v10
	v_addc_co_u32_e32 v4, vcc, v11, v4, vcc
	global_store_dword v[3:4], v6, off
	v_and_or_b32 v1, v2, s6, v1
	v_cmp_ne_u32_e32 vcc, 0, v1
	v_cndmask_b32_e64 v1, 0, 1, vcc
	v_lshrrev_b32_e32 v6, 8, v2
	v_bfe_u32 v10, v2, 20, 11
	v_and_or_b32 v1, v6, s7, v1
	v_sub_u32_e32 v11, 0x3f1, v10
	v_or_b32_e32 v6, 0x1000, v1
	v_med3_i32 v11, v11, 0, 13
	v_lshrrev_b32_e32 v12, v11, v6
	v_mul_f16_sdwa v5, v35, v5 dst_sel:DWORD dst_unused:UNUSED_PAD src0_sel:WORD_1 src1_sel:DWORD
	v_lshlrev_b32_e32 v11, v11, v12
	v_fma_f16 v5, v35, v8, -v5
	v_cmp_ne_u32_e32 vcc, v11, v6
	v_cvt_f32_f16_e32 v5, v5
	v_cndmask_b32_e64 v6, 0, 1, vcc
	v_add_u32_e32 v10, 0xfffffc10, v10
	v_or_b32_e32 v6, v12, v6
	v_lshl_or_b32 v11, v10, 12, v1
	v_cmp_gt_i32_e32 vcc, 1, v10
	v_cndmask_b32_e32 v6, v11, v6, vcc
	v_and_b32_e32 v11, 7, v6
	v_lshrrev_b32_e32 v8, 2, v6
	v_cvt_f64_f32_e32 v[5:6], v5
	v_cmp_lt_i32_e32 vcc, 5, v11
	v_cmp_eq_u32_e64 s[0:1], 3, v11
	s_or_b64 vcc, s[0:1], vcc
	v_mul_f64 v[5:6], v[5:6], s[4:5]
	v_addc_co_u32_e32 v8, vcc, 0, v8, vcc
	v_cmp_gt_i32_e32 vcc, 31, v10
	v_cndmask_b32_e32 v8, v0, v8, vcc
	v_cmp_ne_u32_e32 vcc, 0, v1
	v_cndmask_b32_e64 v1, 0, 1, vcc
	v_lshl_or_b32 v1, v1, 9, v0
	v_cmp_eq_u32_e32 vcc, s10, v10
	v_cndmask_b32_e32 v1, v8, v1, vcc
	v_lshrrev_b32_e32 v2, 16, v2
	v_and_or_b32 v8, v2, s11, v1
	v_and_or_b32 v1, v6, s6, v5
	v_cmp_ne_u32_e32 vcc, 0, v1
	v_cndmask_b32_e64 v1, 0, 1, vcc
	v_lshrrev_b32_e32 v2, 8, v6
	v_bfe_u32 v5, v6, 20, 11
	v_and_or_b32 v1, v2, s7, v1
	v_sub_u32_e32 v10, 0x3f1, v5
	v_or_b32_e32 v2, 0x1000, v1
	v_med3_i32 v10, v10, 0, 13
	v_lshrrev_b32_e32 v11, v10, v2
	v_lshlrev_b32_e32 v10, v10, v11
	v_cmp_ne_u32_e32 vcc, v10, v2
	v_cndmask_b32_e64 v2, 0, 1, vcc
	v_add_u32_e32 v5, 0xfffffc10, v5
	v_or_b32_e32 v2, v11, v2
	v_lshl_or_b32 v10, v5, 12, v1
	v_cmp_gt_i32_e32 vcc, 1, v5
	v_cndmask_b32_e32 v2, v10, v2, vcc
	v_and_b32_e32 v10, 7, v2
	v_cmp_lt_i32_e32 vcc, 5, v10
	v_cmp_eq_u32_e64 s[0:1], 3, v10
	v_lshrrev_b32_e32 v10, 16, v7
	v_lshrrev_b32_e32 v2, 2, v2
	s_or_b64 vcc, s[0:1], vcc
	v_mul_f16_sdwa v11, v34, v10 dst_sel:DWORD dst_unused:UNUSED_PAD src0_sel:WORD_1 src1_sel:DWORD
	v_addc_co_u32_e32 v2, vcc, 0, v2, vcc
	v_fma_f16 v11, v34, v7, v11
	v_cmp_gt_i32_e32 vcc, 31, v5
	v_cvt_f32_f16_e32 v11, v11
	v_cndmask_b32_e32 v2, v0, v2, vcc
	v_cmp_ne_u32_e32 vcc, 0, v1
	v_cndmask_b32_e64 v1, 0, 1, vcc
	v_lshl_or_b32 v1, v1, 9, v0
	v_cmp_eq_u32_e32 vcc, s10, v5
	v_cndmask_b32_e32 v5, v2, v1, vcc
	v_cvt_f64_f32_e32 v[1:2], v11
	v_lshrrev_b32_e32 v6, 16, v6
	v_and_or_b32 v5, v6, s11, v5
	v_and_b32_e32 v6, 0xffff, v8
	v_mul_f64 v[1:2], v[1:2], s[4:5]
	v_lshl_or_b32 v5, v5, 16, v6
	v_mov_b32_e32 v6, s2
	v_add_co_u32_e32 v3, vcc, s3, v3
	v_addc_co_u32_e32 v4, vcc, v4, v6, vcc
	global_store_dword v[3:4], v5, off
	v_and_or_b32 v1, v2, s6, v1
	v_cmp_ne_u32_e32 vcc, 0, v1
	v_cndmask_b32_e64 v1, 0, 1, vcc
	v_lshrrev_b32_e32 v5, 8, v2
	v_bfe_u32 v6, v2, 20, 11
	v_and_or_b32 v1, v5, s7, v1
	v_sub_u32_e32 v8, 0x3f1, v6
	v_or_b32_e32 v5, 0x1000, v1
	v_med3_i32 v8, v8, 0, 13
	v_lshrrev_b32_e32 v11, v8, v5
	v_lshlrev_b32_e32 v8, v8, v11
	v_mul_f16_sdwa v7, v34, v7 dst_sel:DWORD dst_unused:UNUSED_PAD src0_sel:WORD_1 src1_sel:DWORD
	v_cmp_ne_u32_e32 vcc, v8, v5
	v_fma_f16 v7, v34, v10, -v7
	v_cndmask_b32_e64 v5, 0, 1, vcc
	v_add_u32_e32 v8, 0xfffffc10, v6
	v_cvt_f32_f16_e32 v7, v7
	v_or_b32_e32 v5, v11, v5
	v_lshl_or_b32 v6, v8, 12, v1
	v_cmp_gt_i32_e32 vcc, 1, v8
	v_cndmask_b32_e32 v5, v6, v5, vcc
	v_and_b32_e32 v6, 7, v5
	v_cmp_lt_i32_e32 vcc, 5, v6
	v_cmp_eq_u32_e64 s[0:1], 3, v6
	v_lshrrev_b32_e32 v10, 2, v5
	v_cvt_f64_f32_e32 v[5:6], v7
	s_or_b64 vcc, s[0:1], vcc
	v_addc_co_u32_e32 v7, vcc, 0, v10, vcc
	v_mul_f64 v[5:6], v[5:6], s[4:5]
	v_cmp_gt_i32_e32 vcc, 31, v8
	v_cndmask_b32_e32 v7, v0, v7, vcc
	v_cmp_ne_u32_e32 vcc, 0, v1
	v_cndmask_b32_e64 v1, 0, 1, vcc
	v_lshl_or_b32 v1, v1, 9, v0
	v_cmp_eq_u32_e32 vcc, s10, v8
	v_cndmask_b32_e32 v1, v7, v1, vcc
	v_lshrrev_b32_e32 v2, 16, v2
	v_and_or_b32 v7, v2, s11, v1
	v_and_or_b32 v1, v6, s6, v5
	v_cmp_ne_u32_e32 vcc, 0, v1
	v_cndmask_b32_e64 v1, 0, 1, vcc
	v_lshrrev_b32_e32 v2, 8, v6
	v_bfe_u32 v5, v6, 20, 11
	v_and_or_b32 v1, v2, s7, v1
	v_sub_u32_e32 v8, 0x3f1, v5
	v_or_b32_e32 v2, 0x1000, v1
	v_med3_i32 v8, v8, 0, 13
	v_lshrrev_b32_e32 v10, v8, v2
	v_lshlrev_b32_e32 v8, v8, v10
	v_cmp_ne_u32_e32 vcc, v8, v2
	v_cndmask_b32_e64 v2, 0, 1, vcc
	v_add_u32_e32 v5, 0xfffffc10, v5
	v_or_b32_e32 v2, v10, v2
	v_lshl_or_b32 v8, v5, 12, v1
	v_cmp_gt_i32_e32 vcc, 1, v5
	v_cndmask_b32_e32 v2, v8, v2, vcc
	v_and_b32_e32 v8, 7, v2
	v_cmp_lt_i32_e32 vcc, 5, v8
	v_cmp_eq_u32_e64 s[0:1], 3, v8
	v_lshrrev_b32_e32 v8, 16, v9
	v_lshrrev_b32_e32 v2, 2, v2
	s_or_b64 vcc, s[0:1], vcc
	v_mul_f16_sdwa v10, v33, v8 dst_sel:DWORD dst_unused:UNUSED_PAD src0_sel:WORD_1 src1_sel:DWORD
	v_addc_co_u32_e32 v2, vcc, 0, v2, vcc
	v_fma_f16 v10, v33, v9, v10
	v_cmp_gt_i32_e32 vcc, 31, v5
	v_cvt_f32_f16_e32 v10, v10
	v_cndmask_b32_e32 v2, v0, v2, vcc
	v_cmp_ne_u32_e32 vcc, 0, v1
	v_cndmask_b32_e64 v1, 0, 1, vcc
	v_lshl_or_b32 v1, v1, 9, v0
	v_cmp_eq_u32_e32 vcc, s10, v5
	v_cndmask_b32_e32 v5, v2, v1, vcc
	v_cvt_f64_f32_e32 v[1:2], v10
	v_lshrrev_b32_e32 v6, 16, v6
	v_and_or_b32 v5, v6, s11, v5
	v_and_b32_e32 v6, 0xffff, v7
	v_mul_f64 v[1:2], v[1:2], s[4:5]
	v_lshl_or_b32 v5, v5, 16, v6
	v_mov_b32_e32 v6, s2
	v_add_co_u32_e32 v3, vcc, s3, v3
	v_addc_co_u32_e32 v4, vcc, v4, v6, vcc
	global_store_dword v[3:4], v5, off
	v_and_or_b32 v1, v2, s6, v1
	v_cmp_ne_u32_e32 vcc, 0, v1
	v_cndmask_b32_e64 v1, 0, 1, vcc
	v_lshrrev_b32_e32 v5, 8, v2
	v_bfe_u32 v6, v2, 20, 11
	v_and_or_b32 v1, v5, s7, v1
	v_sub_u32_e32 v7, 0x3f1, v6
	v_or_b32_e32 v5, 0x1000, v1
	v_med3_i32 v7, v7, 0, 13
	v_lshrrev_b32_e32 v10, v7, v5
	v_lshlrev_b32_e32 v7, v7, v10
	v_mul_f16_sdwa v9, v33, v9 dst_sel:DWORD dst_unused:UNUSED_PAD src0_sel:WORD_1 src1_sel:DWORD
	v_cmp_ne_u32_e32 vcc, v7, v5
	v_fma_f16 v8, v33, v8, -v9
	v_cndmask_b32_e64 v5, 0, 1, vcc
	v_add_u32_e32 v7, 0xfffffc10, v6
	v_cvt_f32_f16_e32 v8, v8
	v_or_b32_e32 v5, v10, v5
	v_lshl_or_b32 v6, v7, 12, v1
	v_cmp_gt_i32_e32 vcc, 1, v7
	v_cndmask_b32_e32 v5, v6, v5, vcc
	v_and_b32_e32 v6, 7, v5
	v_cmp_lt_i32_e32 vcc, 5, v6
	v_cmp_eq_u32_e64 s[0:1], 3, v6
	v_lshrrev_b32_e32 v9, 2, v5
	v_cvt_f64_f32_e32 v[5:6], v8
	s_or_b64 vcc, s[0:1], vcc
	v_addc_co_u32_e32 v8, vcc, 0, v9, vcc
	v_mul_f64 v[5:6], v[5:6], s[4:5]
	v_cmp_gt_i32_e32 vcc, 31, v7
	v_cndmask_b32_e32 v8, v0, v8, vcc
	v_cmp_ne_u32_e32 vcc, 0, v1
	v_cndmask_b32_e64 v1, 0, 1, vcc
	v_lshl_or_b32 v1, v1, 9, v0
	v_cmp_eq_u32_e32 vcc, s10, v7
	v_cndmask_b32_e32 v1, v8, v1, vcc
	v_lshrrev_b32_e32 v2, 16, v2
	v_and_or_b32 v1, v2, s11, v1
	v_and_or_b32 v2, v6, s6, v5
	v_cmp_ne_u32_e32 vcc, 0, v2
	v_cndmask_b32_e64 v2, 0, 1, vcc
	v_lshrrev_b32_e32 v5, 8, v6
	v_bfe_u32 v7, v6, 20, 11
	v_and_or_b32 v2, v5, s7, v2
	v_sub_u32_e32 v8, 0x3f1, v7
	v_or_b32_e32 v5, 0x1000, v2
	v_med3_i32 v8, v8, 0, 13
	v_lshrrev_b32_e32 v9, v8, v5
	v_lshlrev_b32_e32 v8, v8, v9
	v_cmp_ne_u32_e32 vcc, v8, v5
	v_cndmask_b32_e64 v5, 0, 1, vcc
	v_add_u32_e32 v7, 0xfffffc10, v7
	v_or_b32_e32 v5, v9, v5
	v_lshl_or_b32 v8, v7, 12, v2
	v_cmp_gt_i32_e32 vcc, 1, v7
	v_cndmask_b32_e32 v5, v8, v5, vcc
	v_and_b32_e32 v8, 7, v5
	v_cmp_lt_i32_e32 vcc, 5, v8
	v_cmp_eq_u32_e64 s[0:1], 3, v8
	v_lshrrev_b32_e32 v5, 2, v5
	s_or_b64 vcc, s[0:1], vcc
	v_addc_co_u32_e32 v5, vcc, 0, v5, vcc
	v_cmp_gt_i32_e32 vcc, 31, v7
	v_cndmask_b32_e32 v5, v0, v5, vcc
	v_cmp_ne_u32_e32 vcc, 0, v2
	v_cndmask_b32_e64 v2, 0, 1, vcc
	v_lshl_or_b32 v0, v2, 9, v0
	v_cmp_eq_u32_e32 vcc, s10, v7
	v_cndmask_b32_e32 v0, v5, v0, vcc
	v_lshrrev_b32_e32 v2, 16, v6
	v_and_or_b32 v0, v2, s11, v0
	v_and_b32_e32 v1, 0xffff, v1
	v_lshl_or_b32 v2, v0, 16, v1
	v_mov_b32_e32 v1, s2
	v_add_co_u32_e32 v0, vcc, s3, v3
	v_addc_co_u32_e32 v1, vcc, v4, v1, vcc
	global_store_dword v[0:1], v2, off
.LBB0_10:
	s_endpgm
	.section	.rodata,"a",@progbits
	.p2align	6, 0x0
	.amdhsa_kernel bluestein_single_back_len1500_dim1_half_op_CI_CI
		.amdhsa_group_segment_fixed_size 6000
		.amdhsa_private_segment_fixed_size 0
		.amdhsa_kernarg_size 104
		.amdhsa_user_sgpr_count 6
		.amdhsa_user_sgpr_private_segment_buffer 1
		.amdhsa_user_sgpr_dispatch_ptr 0
		.amdhsa_user_sgpr_queue_ptr 0
		.amdhsa_user_sgpr_kernarg_segment_ptr 1
		.amdhsa_user_sgpr_dispatch_id 0
		.amdhsa_user_sgpr_flat_scratch_init 0
		.amdhsa_user_sgpr_private_segment_size 0
		.amdhsa_uses_dynamic_stack 0
		.amdhsa_system_sgpr_private_segment_wavefront_offset 0
		.amdhsa_system_sgpr_workgroup_id_x 1
		.amdhsa_system_sgpr_workgroup_id_y 0
		.amdhsa_system_sgpr_workgroup_id_z 0
		.amdhsa_system_sgpr_workgroup_info 0
		.amdhsa_system_vgpr_workitem_id 0
		.amdhsa_next_free_vgpr 77
		.amdhsa_next_free_sgpr 20
		.amdhsa_reserve_vcc 1
		.amdhsa_reserve_flat_scratch 0
		.amdhsa_float_round_mode_32 0
		.amdhsa_float_round_mode_16_64 0
		.amdhsa_float_denorm_mode_32 3
		.amdhsa_float_denorm_mode_16_64 3
		.amdhsa_dx10_clamp 1
		.amdhsa_ieee_mode 1
		.amdhsa_fp16_overflow 0
		.amdhsa_exception_fp_ieee_invalid_op 0
		.amdhsa_exception_fp_denorm_src 0
		.amdhsa_exception_fp_ieee_div_zero 0
		.amdhsa_exception_fp_ieee_overflow 0
		.amdhsa_exception_fp_ieee_underflow 0
		.amdhsa_exception_fp_ieee_inexact 0
		.amdhsa_exception_int_div_zero 0
	.end_amdhsa_kernel
	.text
.Lfunc_end0:
	.size	bluestein_single_back_len1500_dim1_half_op_CI_CI, .Lfunc_end0-bluestein_single_back_len1500_dim1_half_op_CI_CI
                                        ; -- End function
	.section	.AMDGPU.csdata,"",@progbits
; Kernel info:
; codeLenInByte = 16280
; NumSgprs: 24
; NumVgprs: 77
; ScratchSize: 0
; MemoryBound: 0
; FloatMode: 240
; IeeeMode: 1
; LDSByteSize: 6000 bytes/workgroup (compile time only)
; SGPRBlocks: 2
; VGPRBlocks: 19
; NumSGPRsForWavesPerEU: 24
; NumVGPRsForWavesPerEU: 77
; Occupancy: 3
; WaveLimiterHint : 1
; COMPUTE_PGM_RSRC2:SCRATCH_EN: 0
; COMPUTE_PGM_RSRC2:USER_SGPR: 6
; COMPUTE_PGM_RSRC2:TRAP_HANDLER: 0
; COMPUTE_PGM_RSRC2:TGID_X_EN: 1
; COMPUTE_PGM_RSRC2:TGID_Y_EN: 0
; COMPUTE_PGM_RSRC2:TGID_Z_EN: 0
; COMPUTE_PGM_RSRC2:TIDIG_COMP_CNT: 0
	.type	__hip_cuid_671ceecd6f9fb64f,@object ; @__hip_cuid_671ceecd6f9fb64f
	.section	.bss,"aw",@nobits
	.globl	__hip_cuid_671ceecd6f9fb64f
__hip_cuid_671ceecd6f9fb64f:
	.byte	0                               ; 0x0
	.size	__hip_cuid_671ceecd6f9fb64f, 1

	.ident	"AMD clang version 19.0.0git (https://github.com/RadeonOpenCompute/llvm-project roc-6.4.0 25133 c7fe45cf4b819c5991fe208aaa96edf142730f1d)"
	.section	".note.GNU-stack","",@progbits
	.addrsig
	.addrsig_sym __hip_cuid_671ceecd6f9fb64f
	.amdgpu_metadata
---
amdhsa.kernels:
  - .args:
      - .actual_access:  read_only
        .address_space:  global
        .offset:         0
        .size:           8
        .value_kind:     global_buffer
      - .actual_access:  read_only
        .address_space:  global
        .offset:         8
        .size:           8
        .value_kind:     global_buffer
      - .actual_access:  read_only
        .address_space:  global
        .offset:         16
        .size:           8
        .value_kind:     global_buffer
      - .actual_access:  read_only
        .address_space:  global
        .offset:         24
        .size:           8
        .value_kind:     global_buffer
      - .actual_access:  read_only
        .address_space:  global
        .offset:         32
        .size:           8
        .value_kind:     global_buffer
      - .offset:         40
        .size:           8
        .value_kind:     by_value
      - .address_space:  global
        .offset:         48
        .size:           8
        .value_kind:     global_buffer
      - .address_space:  global
        .offset:         56
        .size:           8
        .value_kind:     global_buffer
      - .address_space:  global
        .offset:         64
        .size:           8
        .value_kind:     global_buffer
      - .address_space:  global
        .offset:         72
        .size:           8
        .value_kind:     global_buffer
      - .offset:         80
        .size:           4
        .value_kind:     by_value
      - .address_space:  global
        .offset:         88
        .size:           8
        .value_kind:     global_buffer
      - .address_space:  global
        .offset:         96
        .size:           8
        .value_kind:     global_buffer
    .group_segment_fixed_size: 6000
    .kernarg_segment_align: 8
    .kernarg_segment_size: 104
    .language:       OpenCL C
    .language_version:
      - 2
      - 0
    .max_flat_workgroup_size: 150
    .name:           bluestein_single_back_len1500_dim1_half_op_CI_CI
    .private_segment_fixed_size: 0
    .sgpr_count:     24
    .sgpr_spill_count: 0
    .symbol:         bluestein_single_back_len1500_dim1_half_op_CI_CI.kd
    .uniform_work_group_size: 1
    .uses_dynamic_stack: false
    .vgpr_count:     77
    .vgpr_spill_count: 0
    .wavefront_size: 64
amdhsa.target:   amdgcn-amd-amdhsa--gfx906
amdhsa.version:
  - 1
  - 2
...

	.end_amdgpu_metadata
